;; amdgpu-corpus repo=ROCm/rocFFT kind=compiled arch=gfx906 opt=O3
	.text
	.amdgcn_target "amdgcn-amd-amdhsa--gfx906"
	.amdhsa_code_object_version 6
	.protected	fft_rtc_fwd_len850_factors_10_5_17_wgs_85_tpt_85_dp_ip_CI_unitstride_sbrr_C2R_dirReg ; -- Begin function fft_rtc_fwd_len850_factors_10_5_17_wgs_85_tpt_85_dp_ip_CI_unitstride_sbrr_C2R_dirReg
	.globl	fft_rtc_fwd_len850_factors_10_5_17_wgs_85_tpt_85_dp_ip_CI_unitstride_sbrr_C2R_dirReg
	.p2align	8
	.type	fft_rtc_fwd_len850_factors_10_5_17_wgs_85_tpt_85_dp_ip_CI_unitstride_sbrr_C2R_dirReg,@function
fft_rtc_fwd_len850_factors_10_5_17_wgs_85_tpt_85_dp_ip_CI_unitstride_sbrr_C2R_dirReg: ; @fft_rtc_fwd_len850_factors_10_5_17_wgs_85_tpt_85_dp_ip_CI_unitstride_sbrr_C2R_dirReg
; %bb.0:
	s_load_dwordx2 s[2:3], s[4:5], 0x50
	s_load_dwordx4 s[8:11], s[4:5], 0x0
	s_load_dwordx2 s[12:13], s[4:5], 0x18
	v_mul_u32_u24_e32 v1, 0x304, v0
	v_add_u32_sdwa v5, s6, v1 dst_sel:DWORD dst_unused:UNUSED_PAD src0_sel:DWORD src1_sel:WORD_1
	v_mov_b32_e32 v3, 0
	s_waitcnt lgkmcnt(0)
	v_cmp_lt_u64_e64 s[0:1], s[10:11], 2
	v_mov_b32_e32 v1, 0
	v_mov_b32_e32 v6, v3
	s_and_b64 vcc, exec, s[0:1]
	v_mov_b32_e32 v2, 0
	s_cbranch_vccnz .LBB0_8
; %bb.1:
	s_load_dwordx2 s[0:1], s[4:5], 0x10
	s_add_u32 s6, s12, 8
	s_addc_u32 s7, s13, 0
	v_mov_b32_e32 v1, 0
	v_mov_b32_e32 v2, 0
	s_waitcnt lgkmcnt(0)
	s_add_u32 s14, s0, 8
	s_addc_u32 s15, s1, 0
	s_mov_b64 s[16:17], 1
.LBB0_2:                                ; =>This Inner Loop Header: Depth=1
	s_load_dwordx2 s[18:19], s[14:15], 0x0
                                        ; implicit-def: $vgpr7_vgpr8
	s_waitcnt lgkmcnt(0)
	v_or_b32_e32 v4, s19, v6
	v_cmp_ne_u64_e32 vcc, 0, v[3:4]
	s_and_saveexec_b64 s[0:1], vcc
	s_xor_b64 s[20:21], exec, s[0:1]
	s_cbranch_execz .LBB0_4
; %bb.3:                                ;   in Loop: Header=BB0_2 Depth=1
	v_cvt_f32_u32_e32 v4, s18
	v_cvt_f32_u32_e32 v7, s19
	s_sub_u32 s0, 0, s18
	s_subb_u32 s1, 0, s19
	v_mac_f32_e32 v4, 0x4f800000, v7
	v_rcp_f32_e32 v4, v4
	v_mul_f32_e32 v4, 0x5f7ffffc, v4
	v_mul_f32_e32 v7, 0x2f800000, v4
	v_trunc_f32_e32 v7, v7
	v_mac_f32_e32 v4, 0xcf800000, v7
	v_cvt_u32_f32_e32 v7, v7
	v_cvt_u32_f32_e32 v4, v4
	v_mul_lo_u32 v8, s0, v7
	v_mul_hi_u32 v9, s0, v4
	v_mul_lo_u32 v11, s1, v4
	v_mul_lo_u32 v10, s0, v4
	v_add_u32_e32 v8, v9, v8
	v_add_u32_e32 v8, v8, v11
	v_mul_hi_u32 v9, v4, v10
	v_mul_lo_u32 v11, v4, v8
	v_mul_hi_u32 v13, v4, v8
	v_mul_hi_u32 v12, v7, v10
	v_mul_lo_u32 v10, v7, v10
	v_mul_hi_u32 v14, v7, v8
	v_add_co_u32_e32 v9, vcc, v9, v11
	v_addc_co_u32_e32 v11, vcc, 0, v13, vcc
	v_mul_lo_u32 v8, v7, v8
	v_add_co_u32_e32 v9, vcc, v9, v10
	v_addc_co_u32_e32 v9, vcc, v11, v12, vcc
	v_addc_co_u32_e32 v10, vcc, 0, v14, vcc
	v_add_co_u32_e32 v8, vcc, v9, v8
	v_addc_co_u32_e32 v9, vcc, 0, v10, vcc
	v_add_co_u32_e32 v4, vcc, v4, v8
	v_addc_co_u32_e32 v7, vcc, v7, v9, vcc
	v_mul_lo_u32 v8, s0, v7
	v_mul_hi_u32 v9, s0, v4
	v_mul_lo_u32 v10, s1, v4
	v_mul_lo_u32 v11, s0, v4
	v_add_u32_e32 v8, v9, v8
	v_add_u32_e32 v8, v8, v10
	v_mul_lo_u32 v12, v4, v8
	v_mul_hi_u32 v13, v4, v11
	v_mul_hi_u32 v14, v4, v8
	;; [unrolled: 1-line block ×3, first 2 shown]
	v_mul_lo_u32 v11, v7, v11
	v_mul_hi_u32 v9, v7, v8
	v_add_co_u32_e32 v12, vcc, v13, v12
	v_addc_co_u32_e32 v13, vcc, 0, v14, vcc
	v_mul_lo_u32 v8, v7, v8
	v_add_co_u32_e32 v11, vcc, v12, v11
	v_addc_co_u32_e32 v10, vcc, v13, v10, vcc
	v_addc_co_u32_e32 v9, vcc, 0, v9, vcc
	v_add_co_u32_e32 v8, vcc, v10, v8
	v_addc_co_u32_e32 v9, vcc, 0, v9, vcc
	v_add_co_u32_e32 v4, vcc, v4, v8
	v_addc_co_u32_e32 v9, vcc, v7, v9, vcc
	v_mad_u64_u32 v[7:8], s[0:1], v5, v9, 0
	v_mul_hi_u32 v10, v5, v4
	v_add_co_u32_e32 v11, vcc, v10, v7
	v_addc_co_u32_e32 v12, vcc, 0, v8, vcc
	v_mad_u64_u32 v[7:8], s[0:1], v6, v4, 0
	v_mad_u64_u32 v[9:10], s[0:1], v6, v9, 0
	v_add_co_u32_e32 v4, vcc, v11, v7
	v_addc_co_u32_e32 v4, vcc, v12, v8, vcc
	v_addc_co_u32_e32 v7, vcc, 0, v10, vcc
	v_add_co_u32_e32 v4, vcc, v4, v9
	v_addc_co_u32_e32 v9, vcc, 0, v7, vcc
	v_mul_lo_u32 v10, s19, v4
	v_mul_lo_u32 v11, s18, v9
	v_mad_u64_u32 v[7:8], s[0:1], s18, v4, 0
	v_add3_u32 v8, v8, v11, v10
	v_sub_u32_e32 v10, v6, v8
	v_mov_b32_e32 v11, s19
	v_sub_co_u32_e32 v7, vcc, v5, v7
	v_subb_co_u32_e64 v10, s[0:1], v10, v11, vcc
	v_subrev_co_u32_e64 v11, s[0:1], s18, v7
	v_subbrev_co_u32_e64 v10, s[0:1], 0, v10, s[0:1]
	v_cmp_le_u32_e64 s[0:1], s19, v10
	v_cndmask_b32_e64 v12, 0, -1, s[0:1]
	v_cmp_le_u32_e64 s[0:1], s18, v11
	v_cndmask_b32_e64 v11, 0, -1, s[0:1]
	v_cmp_eq_u32_e64 s[0:1], s19, v10
	v_cndmask_b32_e64 v10, v12, v11, s[0:1]
	v_add_co_u32_e64 v11, s[0:1], 2, v4
	v_addc_co_u32_e64 v12, s[0:1], 0, v9, s[0:1]
	v_add_co_u32_e64 v13, s[0:1], 1, v4
	v_addc_co_u32_e64 v14, s[0:1], 0, v9, s[0:1]
	v_subb_co_u32_e32 v8, vcc, v6, v8, vcc
	v_cmp_ne_u32_e64 s[0:1], 0, v10
	v_cmp_le_u32_e32 vcc, s19, v8
	v_cndmask_b32_e64 v10, v14, v12, s[0:1]
	v_cndmask_b32_e64 v12, 0, -1, vcc
	v_cmp_le_u32_e32 vcc, s18, v7
	v_cndmask_b32_e64 v7, 0, -1, vcc
	v_cmp_eq_u32_e32 vcc, s19, v8
	v_cndmask_b32_e32 v7, v12, v7, vcc
	v_cmp_ne_u32_e32 vcc, 0, v7
	v_cndmask_b32_e64 v7, v13, v11, s[0:1]
	v_cndmask_b32_e32 v8, v9, v10, vcc
	v_cndmask_b32_e32 v7, v4, v7, vcc
.LBB0_4:                                ;   in Loop: Header=BB0_2 Depth=1
	s_andn2_saveexec_b64 s[0:1], s[20:21]
	s_cbranch_execz .LBB0_6
; %bb.5:                                ;   in Loop: Header=BB0_2 Depth=1
	v_cvt_f32_u32_e32 v4, s18
	s_sub_i32 s20, 0, s18
	v_rcp_iflag_f32_e32 v4, v4
	v_mul_f32_e32 v4, 0x4f7ffffe, v4
	v_cvt_u32_f32_e32 v4, v4
	v_mul_lo_u32 v7, s20, v4
	v_mul_hi_u32 v7, v4, v7
	v_add_u32_e32 v4, v4, v7
	v_mul_hi_u32 v4, v5, v4
	v_mul_lo_u32 v7, v4, s18
	v_add_u32_e32 v8, 1, v4
	v_sub_u32_e32 v7, v5, v7
	v_subrev_u32_e32 v9, s18, v7
	v_cmp_le_u32_e32 vcc, s18, v7
	v_cndmask_b32_e32 v7, v7, v9, vcc
	v_cndmask_b32_e32 v4, v4, v8, vcc
	v_add_u32_e32 v8, 1, v4
	v_cmp_le_u32_e32 vcc, s18, v7
	v_cndmask_b32_e32 v7, v4, v8, vcc
	v_mov_b32_e32 v8, v3
.LBB0_6:                                ;   in Loop: Header=BB0_2 Depth=1
	s_or_b64 exec, exec, s[0:1]
	v_mul_lo_u32 v4, v8, s18
	v_mul_lo_u32 v11, v7, s19
	v_mad_u64_u32 v[9:10], s[0:1], v7, s18, 0
	s_load_dwordx2 s[0:1], s[6:7], 0x0
	s_add_u32 s16, s16, 1
	v_add3_u32 v4, v10, v11, v4
	v_sub_co_u32_e32 v5, vcc, v5, v9
	v_subb_co_u32_e32 v4, vcc, v6, v4, vcc
	s_waitcnt lgkmcnt(0)
	v_mul_lo_u32 v4, s0, v4
	v_mul_lo_u32 v6, s1, v5
	v_mad_u64_u32 v[1:2], s[0:1], s0, v5, v[1:2]
	s_addc_u32 s17, s17, 0
	s_add_u32 s6, s6, 8
	v_add3_u32 v2, v6, v2, v4
	v_mov_b32_e32 v4, s10
	v_mov_b32_e32 v5, s11
	s_addc_u32 s7, s7, 0
	v_cmp_ge_u64_e32 vcc, s[16:17], v[4:5]
	s_add_u32 s14, s14, 8
	s_addc_u32 s15, s15, 0
	s_cbranch_vccnz .LBB0_9
; %bb.7:                                ;   in Loop: Header=BB0_2 Depth=1
	v_mov_b32_e32 v5, v7
	v_mov_b32_e32 v6, v8
	s_branch .LBB0_2
.LBB0_8:
	v_mov_b32_e32 v8, v6
	v_mov_b32_e32 v7, v5
.LBB0_9:
	s_lshl_b64 s[0:1], s[10:11], 3
	s_add_u32 s0, s12, s0
	s_addc_u32 s1, s13, s1
	s_load_dwordx2 s[6:7], s[0:1], 0x0
	s_load_dwordx2 s[10:11], s[4:5], 0x20
	s_waitcnt lgkmcnt(0)
	v_mad_u64_u32 v[1:2], s[0:1], s6, v7, v[1:2]
	v_mul_lo_u32 v3, s6, v8
	v_mul_lo_u32 v4, s7, v7
	s_mov_b32 s0, 0x3030304
	v_mul_hi_u32 v5, v0, s0
	v_cmp_gt_u64_e64 s[0:1], s[10:11], v[7:8]
	v_add3_u32 v2, v4, v2, v3
	v_lshlrev_b64 v[78:79], 4, v[1:2]
	v_mul_u32_u24_e32 v3, 0x55, v5
	v_sub_u32_e32 v76, v0, v3
	s_and_saveexec_b64 s[4:5], s[0:1]
	s_cbranch_execz .LBB0_13
; %bb.10:
	v_mov_b32_e32 v77, 0
	v_mov_b32_e32 v0, s3
	v_add_co_u32_e32 v1, vcc, s2, v78
	v_lshlrev_b64 v[2:3], 4, v[76:77]
	v_addc_co_u32_e32 v0, vcc, v0, v79, vcc
	v_add_co_u32_e32 v18, vcc, v1, v2
	v_addc_co_u32_e32 v19, vcc, v0, v3, vcc
	s_movk_i32 s6, 0x1000
	v_add_co_u32_e32 v42, vcc, s6, v18
	v_addc_co_u32_e32 v43, vcc, 0, v19, vcc
	v_add_co_u32_e32 v44, vcc, 0x2000, v18
	global_load_dwordx4 v[2:5], v[18:19], off
	global_load_dwordx4 v[6:9], v[18:19], off offset:1360
	global_load_dwordx4 v[10:13], v[18:19], off offset:2720
	;; [unrolled: 1-line block ×3, first 2 shown]
	v_addc_co_u32_e32 v45, vcc, 0, v19, vcc
	global_load_dwordx4 v[18:21], v[42:43], off offset:1344
	global_load_dwordx4 v[22:25], v[42:43], off offset:2704
	;; [unrolled: 1-line block ×6, first 2 shown]
	s_movk_i32 s6, 0x54
	v_lshl_add_u32 v42, v76, 4, 0
	v_cmp_eq_u32_e32 vcc, s6, v76
	s_waitcnt vmcnt(9)
	ds_write_b128 v42, v[2:5]
	s_waitcnt vmcnt(8)
	ds_write_b128 v42, v[6:9] offset:1360
	s_waitcnt vmcnt(7)
	ds_write_b128 v42, v[10:13] offset:2720
	;; [unrolled: 2-line block ×9, first 2 shown]
	s_and_saveexec_b64 s[6:7], vcc
	s_cbranch_execz .LBB0_12
; %bb.11:
	v_add_co_u32_e32 v1, vcc, 0x3000, v1
	v_addc_co_u32_e32 v2, vcc, 0, v0, vcc
	global_load_dwordx4 v[0:3], v[1:2], off offset:1312
	v_mov_b32_e32 v76, 0x54
	s_waitcnt vmcnt(0)
	ds_write_b128 v77, v[0:3] offset:13600
.LBB0_12:
	s_or_b64 exec, exec, s[6:7]
.LBB0_13:
	s_or_b64 exec, exec, s[4:5]
	v_lshlrev_b32_e32 v68, 4, v76
	v_add_u32_e32 v184, 0, v68
	s_waitcnt lgkmcnt(0)
	s_barrier
	v_sub_u32_e32 v10, 0, v68
	ds_read_b64 v[6:7], v184
	ds_read_b64 v[8:9], v10 offset:13600
	s_add_u32 s6, s8, 0x3480
	s_addc_u32 s7, s9, 0
	v_cmp_ne_u32_e32 vcc, 0, v76
                                        ; implicit-def: $vgpr4_vgpr5
	s_waitcnt lgkmcnt(0)
	v_add_f64 v[0:1], v[6:7], v[8:9]
	v_add_f64 v[2:3], v[6:7], -v[8:9]
	s_and_saveexec_b64 s[4:5], vcc
	s_xor_b64 s[4:5], exec, s[4:5]
	s_cbranch_execz .LBB0_15
; %bb.14:
	v_mov_b32_e32 v77, 0
	v_lshlrev_b64 v[0:1], 4, v[76:77]
	v_mov_b32_e32 v2, s7
	v_add_co_u32_e32 v0, vcc, s6, v0
	v_addc_co_u32_e32 v1, vcc, v2, v1, vcc
	global_load_dwordx4 v[2:5], v[0:1], off
	ds_read_b64 v[0:1], v10 offset:13608
	ds_read_b64 v[11:12], v184 offset:8
	v_add_f64 v[13:14], v[6:7], v[8:9]
	v_add_f64 v[8:9], v[6:7], -v[8:9]
	s_waitcnt lgkmcnt(0)
	v_add_f64 v[15:16], v[0:1], v[11:12]
	v_add_f64 v[0:1], v[11:12], -v[0:1]
	s_waitcnt vmcnt(0)
	v_fma_f64 v[6:7], -v[8:9], v[4:5], v[13:14]
	v_fma_f64 v[11:12], v[15:16], v[4:5], -v[0:1]
	v_fma_f64 v[13:14], v[8:9], v[4:5], v[13:14]
	v_fma_f64 v[17:18], v[15:16], v[4:5], v[0:1]
	;; [unrolled: 1-line block ×4, first 2 shown]
	v_fma_f64 v[0:1], -v[15:16], v[2:3], v[13:14]
	v_fma_f64 v[2:3], v[8:9], v[2:3], v[17:18]
	ds_write_b128 v10, v[4:7] offset:13600
	v_mov_b32_e32 v4, v76
	v_mov_b32_e32 v5, v77
.LBB0_15:
	s_andn2_saveexec_b64 s[4:5], s[4:5]
	s_cbranch_execz .LBB0_17
; %bb.16:
	v_mov_b32_e32 v8, 0
	ds_read_b128 v[4:7], v8 offset:6800
	s_waitcnt lgkmcnt(0)
	v_add_f64 v[11:12], v[4:5], v[4:5]
	v_mul_f64 v[13:14], v[6:7], -2.0
	v_mov_b32_e32 v4, 0
	v_mov_b32_e32 v5, 0
	ds_write_b128 v8, v[11:14] offset:6800
.LBB0_17:
	s_or_b64 exec, exec, s[4:5]
	v_lshlrev_b64 v[4:5], 4, v[4:5]
	v_mov_b32_e32 v6, s7
	v_add_co_u32_e32 v23, vcc, s6, v4
	v_addc_co_u32_e32 v24, vcc, v6, v5, vcc
	global_load_dwordx4 v[4:7], v[23:24], off offset:1360
	global_load_dwordx4 v[11:14], v[23:24], off offset:2720
	ds_write_b128 v184, v[0:3]
	ds_read_b128 v[0:3], v184 offset:1360
	ds_read_b128 v[15:18], v10 offset:12240
	global_load_dwordx4 v[19:22], v[23:24], off offset:4080
	s_movk_i32 s4, 0x1000
	s_mov_b32 s14, 0x134454ff
	s_mov_b32 s15, 0x3fee6f0e
	s_waitcnt lgkmcnt(0)
	v_add_f64 v[8:9], v[0:1], v[15:16]
	v_add_f64 v[25:26], v[17:18], v[2:3]
	v_add_f64 v[15:16], v[0:1], -v[15:16]
	v_add_f64 v[0:1], v[2:3], -v[17:18]
	s_mov_b32 s13, 0xbfee6f0e
	s_mov_b32 s12, s14
	;; [unrolled: 1-line block ×8, first 2 shown]
	s_waitcnt vmcnt(2)
	v_fma_f64 v[2:3], v[15:16], v[6:7], v[8:9]
	v_fma_f64 v[17:18], v[25:26], v[6:7], v[0:1]
	v_fma_f64 v[8:9], -v[15:16], v[6:7], v[8:9]
	v_fma_f64 v[27:28], v[25:26], v[6:7], -v[0:1]
	v_fma_f64 v[0:1], -v[25:26], v[4:5], v[2:3]
	v_fma_f64 v[2:3], v[15:16], v[4:5], v[17:18]
	v_fma_f64 v[6:7], v[25:26], v[4:5], v[8:9]
	;; [unrolled: 1-line block ×3, first 2 shown]
	ds_write_b128 v184, v[0:3] offset:1360
	ds_write_b128 v10, v[6:9] offset:12240
	v_add_co_u32_e32 v8, vcc, s4, v23
	v_addc_co_u32_e32 v9, vcc, 0, v24, vcc
	ds_read_b128 v[0:3], v184 offset:2720
	ds_read_b128 v[4:7], v10 offset:10880
	global_load_dwordx4 v[15:18], v[8:9], off offset:1344
	s_mov_b32 s4, 0x372fe950
	s_mov_b32 s5, 0x3fd3c6ef
	v_cmp_gt_u32_e32 vcc, 50, v76
	s_waitcnt lgkmcnt(0)
	v_add_f64 v[8:9], v[0:1], v[4:5]
	v_add_f64 v[23:24], v[6:7], v[2:3]
	v_add_f64 v[25:26], v[0:1], -v[4:5]
	v_add_f64 v[0:1], v[2:3], -v[6:7]
	s_waitcnt vmcnt(2)
	v_fma_f64 v[2:3], v[25:26], v[13:14], v[8:9]
	v_fma_f64 v[4:5], v[23:24], v[13:14], v[0:1]
	v_fma_f64 v[6:7], -v[25:26], v[13:14], v[8:9]
	v_fma_f64 v[8:9], v[23:24], v[13:14], -v[0:1]
	v_fma_f64 v[0:1], -v[23:24], v[11:12], v[2:3]
	v_fma_f64 v[2:3], v[25:26], v[11:12], v[4:5]
	v_fma_f64 v[4:5], v[23:24], v[11:12], v[6:7]
	;; [unrolled: 1-line block ×3, first 2 shown]
	ds_write_b128 v184, v[0:3] offset:2720
	ds_write_b128 v10, v[4:7] offset:10880
	ds_read_b128 v[0:3], v184 offset:4080
	ds_read_b128 v[4:7], v10 offset:9520
	s_waitcnt lgkmcnt(0)
	v_add_f64 v[8:9], v[0:1], v[4:5]
	v_add_f64 v[11:12], v[6:7], v[2:3]
	v_add_f64 v[13:14], v[0:1], -v[4:5]
	v_add_f64 v[0:1], v[2:3], -v[6:7]
	s_waitcnt vmcnt(1)
	v_fma_f64 v[2:3], v[13:14], v[21:22], v[8:9]
	v_fma_f64 v[4:5], v[11:12], v[21:22], v[0:1]
	v_fma_f64 v[6:7], -v[13:14], v[21:22], v[8:9]
	v_fma_f64 v[8:9], v[11:12], v[21:22], -v[0:1]
	v_fma_f64 v[0:1], -v[11:12], v[19:20], v[2:3]
	v_fma_f64 v[2:3], v[13:14], v[19:20], v[4:5]
	v_fma_f64 v[4:5], v[11:12], v[19:20], v[6:7]
	;; [unrolled: 1-line block ×3, first 2 shown]
	ds_write_b128 v184, v[0:3] offset:4080
	ds_write_b128 v10, v[4:7] offset:9520
	ds_read_b128 v[0:3], v184 offset:5440
	ds_read_b128 v[4:7], v10 offset:8160
	s_waitcnt lgkmcnt(0)
	v_add_f64 v[8:9], v[0:1], v[4:5]
	v_add_f64 v[11:12], v[6:7], v[2:3]
	v_add_f64 v[13:14], v[0:1], -v[4:5]
	v_add_f64 v[0:1], v[2:3], -v[6:7]
	s_waitcnt vmcnt(0)
	v_fma_f64 v[2:3], v[13:14], v[17:18], v[8:9]
	v_fma_f64 v[4:5], v[11:12], v[17:18], v[0:1]
	v_fma_f64 v[6:7], -v[13:14], v[17:18], v[8:9]
	v_fma_f64 v[8:9], v[11:12], v[17:18], -v[0:1]
	v_fma_f64 v[0:1], -v[11:12], v[15:16], v[2:3]
	v_fma_f64 v[2:3], v[13:14], v[15:16], v[4:5]
	v_fma_f64 v[4:5], v[11:12], v[15:16], v[6:7]
	;; [unrolled: 1-line block ×3, first 2 shown]
	ds_write_b128 v184, v[0:3] offset:5440
	ds_write_b128 v10, v[4:7] offset:8160
	s_waitcnt lgkmcnt(0)
	s_barrier
	s_barrier
	ds_read_b128 v[0:3], v184
	ds_read_b128 v[4:7], v184 offset:1360
	ds_read_b128 v[8:11], v184 offset:2720
	;; [unrolled: 1-line block ×9, first 2 shown]
	s_waitcnt lgkmcnt(7)
	v_add_f64 v[40:41], v[0:1], v[8:9]
	s_waitcnt lgkmcnt(3)
	v_add_f64 v[42:43], v[16:17], v[24:25]
	v_add_f64 v[48:49], v[8:9], -v[16:17]
	s_waitcnt lgkmcnt(2)
	v_add_f64 v[50:51], v[28:29], -v[24:25]
	v_add_f64 v[52:53], v[8:9], v[28:29]
	v_add_f64 v[54:55], v[16:17], -v[8:9]
	v_add_f64 v[56:57], v[24:25], -v[28:29]
	v_add_f64 v[58:59], v[2:3], v[10:11]
	v_add_f64 v[60:61], v[18:19], v[26:27]
	;; [unrolled: 1-line block ×4, first 2 shown]
	s_waitcnt lgkmcnt(1)
	v_add_f64 v[80:81], v[20:21], v[32:33]
	s_waitcnt lgkmcnt(0)
	v_add_f64 v[90:91], v[12:13], v[36:37]
	v_add_f64 v[98:99], v[22:23], v[34:35]
	;; [unrolled: 1-line block ×4, first 2 shown]
	v_add_f64 v[44:45], v[10:11], -v[30:31]
	v_add_f64 v[46:47], v[18:19], -v[26:27]
	;; [unrolled: 1-line block ×11, first 2 shown]
	v_add_f64 v[16:17], v[40:41], v[16:17]
	v_fma_f64 v[40:41], v[42:43], -0.5, v[0:1]
	v_add_f64 v[42:43], v[48:49], v[50:51]
	v_fma_f64 v[0:1], v[52:53], -0.5, v[0:1]
	v_add_f64 v[48:49], v[54:55], v[56:57]
	v_add_f64 v[18:19], v[58:59], v[18:19]
	v_fma_f64 v[50:51], v[60:61], -0.5, v[2:3]
	v_fma_f64 v[2:3], v[69:70], -0.5, v[2:3]
	v_add_f64 v[20:21], v[73:74], v[20:21]
	v_fma_f64 v[54:55], v[80:81], -0.5, v[4:5]
	v_add_f64 v[71:72], v[26:27], -v[30:31]
	v_add_f64 v[84:85], v[22:23], -v[34:35]
	v_fma_f64 v[4:5], v[90:91], -0.5, v[4:5]
	v_fma_f64 v[60:61], v[98:99], -0.5, v[6:7]
	;; [unrolled: 1-line block ×3, first 2 shown]
	v_add_f64 v[12:13], v[12:13], -v[36:37]
	v_add_f64 v[102:103], v[14:15], -v[22:23]
	;; [unrolled: 1-line block ×3, first 2 shown]
	v_add_f64 v[22:23], v[96:97], v[22:23]
	v_add_f64 v[88:89], v[36:37], -v[32:33]
	v_add_f64 v[94:95], v[32:33], -v[36:37]
	v_add_f64 v[52:53], v[64:65], v[66:67]
	v_add_f64 v[16:17], v[16:17], v[24:25]
	v_fma_f64 v[24:25], v[44:45], s[14:15], v[40:41]
	v_fma_f64 v[40:41], v[44:45], s[12:13], v[40:41]
	v_fma_f64 v[66:67], v[46:47], s[12:13], v[0:1]
	v_fma_f64 v[0:1], v[46:47], s[14:15], v[0:1]
	v_add_f64 v[18:19], v[18:19], v[26:27]
	v_fma_f64 v[26:27], v[8:9], s[12:13], v[50:51]
	v_fma_f64 v[50:51], v[8:9], s[14:15], v[50:51]
	;; [unrolled: 1-line block ×4, first 2 shown]
	v_add_f64 v[20:21], v[20:21], v[32:33]
	v_fma_f64 v[32:33], v[82:83], s[14:15], v[54:55]
	v_add_f64 v[108:109], v[34:35], -v[38:39]
	v_add_f64 v[10:11], v[10:11], v[71:72]
	v_fma_f64 v[71:72], v[84:85], s[12:13], v[4:5]
	v_fma_f64 v[73:74], v[100:101], s[14:15], v[6:7]
	;; [unrolled: 1-line block ×4, first 2 shown]
	v_add_f64 v[104:105], v[38:39], -v[34:35]
	v_fma_f64 v[54:55], v[82:83], s[12:13], v[54:55]
	v_add_f64 v[22:23], v[22:23], v[34:35]
	v_fma_f64 v[34:35], v[12:13], s[12:13], v[60:61]
	v_fma_f64 v[60:61], v[12:13], s[14:15], v[60:61]
	v_add_f64 v[56:57], v[86:87], v[88:89]
	v_add_f64 v[16:17], v[16:17], v[28:29]
	v_fma_f64 v[24:25], v[46:47], s[6:7], v[24:25]
	v_fma_f64 v[28:29], v[46:47], s[10:11], v[40:41]
	;; [unrolled: 1-line block ×4, first 2 shown]
	v_add_f64 v[30:31], v[18:19], v[30:31]
	v_fma_f64 v[18:19], v[62:63], s[10:11], v[26:27]
	v_fma_f64 v[26:27], v[62:63], s[6:7], v[50:51]
	;; [unrolled: 1-line block ×4, first 2 shown]
	v_add_f64 v[8:9], v[20:21], v[36:37]
	v_fma_f64 v[20:21], v[84:85], s[6:7], v[32:33]
	v_add_f64 v[58:59], v[92:93], v[94:95]
	v_add_f64 v[14:15], v[14:15], v[108:109]
	v_fma_f64 v[36:37], v[82:83], s[6:7], v[71:72]
	v_fma_f64 v[46:47], v[12:13], s[10:11], v[73:74]
	;; [unrolled: 1-line block ×4, first 2 shown]
	v_add_f64 v[64:65], v[102:103], v[104:105]
	v_fma_f64 v[32:33], v[84:85], s[10:11], v[54:55]
	v_add_f64 v[38:39], v[22:23], v[38:39]
	v_fma_f64 v[22:23], v[100:101], s[10:11], v[34:35]
	v_fma_f64 v[34:35], v[100:101], s[6:7], v[60:61]
	;; [unrolled: 1-line block ×18, first 2 shown]
	v_add_f64 v[0:1], v[16:17], v[8:9]
	v_add_f64 v[4:5], v[16:17], -v[8:9]
	v_mul_f64 v[8:9], v[10:11], s[16:17]
	v_mul_f64 v[10:11], v[10:11], s[10:11]
	;; [unrolled: 1-line block ×8, first 2 shown]
	v_fma_f64 v[56:57], v[22:23], s[6:7], v[8:9]
	v_fma_f64 v[60:61], v[22:23], s[16:17], v[10:11]
	;; [unrolled: 1-line block ×4, first 2 shown]
	v_fma_f64 v[6:7], v[6:7], s[14:15], -v[16:17]
	v_fma_f64 v[46:47], v[20:21], s[12:13], -v[46:47]
	;; [unrolled: 1-line block ×4, first 2 shown]
	v_add_f64 v[2:3], v[30:31], v[38:39]
	v_add_f64 v[8:9], v[24:25], v[56:57]
	;; [unrolled: 1-line block ×9, first 2 shown]
	v_add_f64 v[32:33], v[40:41], -v[6:7]
	v_add_f64 v[6:7], v[30:31], -v[38:39]
	;; [unrolled: 1-line block ×4, first 2 shown]
	s_movk_i32 s16, 0x90
	v_add_f64 v[28:29], v[28:29], -v[58:59]
	v_add_f64 v[30:31], v[44:45], -v[62:63]
	v_mad_u32_u24 v40, v76, s16, v184
	s_movk_i32 s16, 0xcd
	v_add_f64 v[36:37], v[42:43], -v[34:35]
	v_add_f64 v[34:35], v[52:53], -v[46:47]
	;; [unrolled: 1-line block ×3, first 2 shown]
	s_barrier
	ds_write_b128 v40, v[0:3]
	ds_write_b128 v40, v[8:11] offset:16
	ds_write_b128 v40, v[12:15] offset:32
	;; [unrolled: 1-line block ×9, first 2 shown]
	v_mul_lo_u16_sdwa v0, v76, s16 dst_sel:DWORD dst_unused:UNUSED_PAD src0_sel:BYTE_0 src1_sel:DWORD
	v_lshrrev_b16_e32 v40, 11, v0
	v_mul_lo_u16_e32 v0, 10, v40
	v_sub_u16_e32 v41, v76, v0
	v_mov_b32_e32 v16, 6
	v_lshlrev_b32_sdwa v17, v16, v41 dst_sel:DWORD dst_unused:UNUSED_PAD src0_sel:DWORD src1_sel:BYTE_0
	s_waitcnt lgkmcnt(0)
	s_barrier
	global_load_dwordx4 v[0:3], v17, s[8:9] offset:16
	global_load_dwordx4 v[4:7], v17, s[8:9]
	global_load_dwordx4 v[8:11], v17, s[8:9] offset:48
	global_load_dwordx4 v[12:15], v17, s[8:9] offset:32
	v_add_u16_e32 v17, 0x55, v76
	v_mul_lo_u16_sdwa v18, v17, s16 dst_sel:DWORD dst_unused:UNUSED_PAD src0_sel:BYTE_0 src1_sel:DWORD
	v_lshrrev_b16_e32 v42, 11, v18
	v_mul_lo_u16_e32 v18, 10, v42
	v_sub_u16_e32 v43, v17, v18
	v_lshlrev_b32_sdwa v32, v16, v43 dst_sel:DWORD dst_unused:UNUSED_PAD src0_sel:DWORD src1_sel:BYTE_0
	global_load_dwordx4 v[16:19], v32, s[8:9]
	global_load_dwordx4 v[20:23], v32, s[8:9] offset:16
	global_load_dwordx4 v[24:27], v32, s[8:9] offset:32
	;; [unrolled: 1-line block ×3, first 2 shown]
	ds_read_b128 v[32:35], v184
	ds_read_b128 v[36:39], v184 offset:1360
	ds_read_b128 v[44:47], v184 offset:2720
	;; [unrolled: 1-line block ×9, first 2 shown]
	v_mul_u32_u24_e32 v40, 0x320, v40
	s_waitcnt vmcnt(0) lgkmcnt(0)
	s_barrier
	v_mul_f64 v[84:85], v[54:55], v[2:3]
	v_mul_f64 v[73:74], v[46:47], v[6:7]
	;; [unrolled: 1-line block ×15, first 2 shown]
	v_fma_f64 v[44:45], v[44:45], v[4:5], -v[73:74]
	v_fma_f64 v[4:5], v[46:47], v[4:5], v[6:7]
	v_fma_f64 v[6:7], v[52:53], v[0:1], -v[84:85]
	v_fma_f64 v[0:1], v[54:55], v[0:1], v[2:3]
	;; [unrolled: 2-line block ×3, first 2 shown]
	v_fma_f64 v[12:13], v[69:70], v[8:9], -v[88:89]
	v_mul_f64 v[22:23], v[56:57], v[22:23]
	v_fma_f64 v[10:11], v[71:72], v[8:9], v[10:11]
	v_fma_f64 v[46:47], v[48:49], v[16:17], -v[90:91]
	v_fma_f64 v[48:49], v[50:51], v[16:17], v[18:19]
	v_fma_f64 v[50:51], v[56:57], v[20:21], -v[92:93]
	v_fma_f64 v[52:53], v[64:65], v[24:25], -v[94:95]
	v_fma_f64 v[26:27], v[66:67], v[24:25], v[26:27]
	v_fma_f64 v[54:55], v[80:81], v[28:29], -v[96:97]
	v_fma_f64 v[30:31], v[82:83], v[28:29], v[30:31]
	v_add_f64 v[8:9], v[32:33], v[44:45]
	v_add_f64 v[16:17], v[6:7], v[2:3]
	v_add_f64 v[24:25], v[44:45], -v[6:7]
	v_add_f64 v[28:29], v[12:13], -v[2:3]
	v_add_f64 v[56:57], v[44:45], v[12:13]
	v_fma_f64 v[22:23], v[58:59], v[20:21], v[22:23]
	v_add_f64 v[18:19], v[4:5], -v[10:11]
	v_add_f64 v[20:21], v[0:1], -v[14:15]
	;; [unrolled: 1-line block ×4, first 2 shown]
	v_add_f64 v[62:63], v[34:35], v[4:5]
	v_add_f64 v[64:65], v[0:1], v[14:15]
	v_add_f64 v[66:67], v[6:7], -v[2:3]
	v_add_f64 v[69:70], v[4:5], -v[0:1]
	v_add_f64 v[73:74], v[4:5], v[10:11]
	v_add_f64 v[80:81], v[0:1], -v[4:5]
	v_add_f64 v[4:5], v[50:51], v[52:53]
	v_add_f64 v[6:7], v[8:9], v[6:7]
	v_fma_f64 v[8:9], v[16:17], -0.5, v[32:33]
	v_add_f64 v[16:17], v[24:25], v[28:29]
	v_fma_f64 v[24:25], v[56:57], -0.5, v[32:33]
	v_add_f64 v[44:45], v[44:45], -v[12:13]
	v_add_f64 v[28:29], v[58:59], v[60:61]
	v_add_f64 v[0:1], v[62:63], v[0:1]
	v_fma_f64 v[32:33], v[64:65], -0.5, v[34:35]
	v_fma_f64 v[58:59], v[4:5], -0.5, v[36:37]
	v_fma_f64 v[4:5], v[18:19], s[14:15], v[8:9]
	v_fma_f64 v[8:9], v[18:19], s[12:13], v[8:9]
	;; [unrolled: 1-line block ×4, first 2 shown]
	v_add_f64 v[71:72], v[10:11], -v[14:15]
	v_add_f64 v[82:83], v[36:37], v[46:47]
	v_fma_f64 v[34:35], v[73:74], -0.5, v[34:35]
	v_add_f64 v[2:3], v[6:7], v[2:3]
	v_add_f64 v[6:7], v[0:1], v[14:15]
	v_fma_f64 v[62:63], v[44:45], s[12:13], v[32:33]
	v_fma_f64 v[32:33], v[44:45], s[14:15], v[32:33]
	;; [unrolled: 1-line block ×6, first 2 shown]
	v_add_f64 v[56:57], v[69:70], v[71:72]
	v_fma_f64 v[24:25], v[66:67], s[14:15], v[34:35]
	v_add_f64 v[0:1], v[2:3], v[12:13]
	v_add_f64 v[2:3], v[6:7], v[10:11]
	v_fma_f64 v[6:7], v[66:67], s[10:11], v[62:63]
	v_add_f64 v[10:11], v[14:15], -v[10:11]
	v_fma_f64 v[14:15], v[66:67], s[12:13], v[34:35]
	v_fma_f64 v[12:13], v[28:29], s[4:5], v[18:19]
	v_add_f64 v[18:19], v[82:83], v[50:51]
	v_add_f64 v[34:35], v[46:47], -v[50:51]
	v_add_f64 v[60:61], v[54:55], -v[52:53]
	v_fma_f64 v[32:33], v[66:67], s[6:7], v[32:33]
	v_add_f64 v[62:63], v[46:47], v[54:55]
	v_add_f64 v[84:85], v[48:49], -v[30:31]
	v_fma_f64 v[4:5], v[16:17], s[4:5], v[4:5]
	v_fma_f64 v[16:17], v[16:17], s[4:5], v[8:9]
	;; [unrolled: 1-line block ×3, first 2 shown]
	v_add_f64 v[28:29], v[22:23], -v[26:27]
	v_fma_f64 v[24:25], v[44:45], s[10:11], v[24:25]
	v_add_f64 v[64:65], v[80:81], v[10:11]
	v_fma_f64 v[14:15], v[44:45], s[6:7], v[14:15]
	v_add_f64 v[44:45], v[18:19], v[52:53]
	v_add_f64 v[34:35], v[34:35], v[60:61]
	v_fma_f64 v[36:37], v[62:63], -0.5, v[36:37]
	v_fma_f64 v[18:19], v[56:57], s[4:5], v[32:33]
	v_add_f64 v[32:33], v[22:23], v[26:27]
	v_add_f64 v[60:61], v[48:49], v[30:31]
	v_fma_f64 v[20:21], v[84:85], s[14:15], v[58:59]
	v_fma_f64 v[6:7], v[56:57], s[4:5], v[6:7]
	;; [unrolled: 1-line block ×4, first 2 shown]
	v_add_f64 v[24:25], v[44:45], v[54:55]
	v_fma_f64 v[44:45], v[84:85], s[12:13], v[58:59]
	v_fma_f64 v[56:57], v[28:29], s[12:13], v[36:37]
	v_add_f64 v[58:59], v[50:51], -v[46:47]
	v_add_f64 v[62:63], v[52:53], -v[54:55]
	v_add_f64 v[64:65], v[38:39], v[48:49]
	v_fma_f64 v[32:33], v[32:33], -0.5, v[38:39]
	v_add_f64 v[46:47], v[46:47], -v[54:55]
	v_add_f64 v[50:51], v[50:51], -v[52:53]
	v_fma_f64 v[38:39], v[60:61], -0.5, v[38:39]
	v_fma_f64 v[20:21], v[28:29], s[6:7], v[20:21]
	v_fma_f64 v[44:45], v[28:29], s[10:11], v[44:45]
	;; [unrolled: 1-line block ×3, first 2 shown]
	v_add_f64 v[52:53], v[58:59], v[62:63]
	v_fma_f64 v[28:29], v[28:29], s[14:15], v[36:37]
	v_add_f64 v[36:37], v[64:65], v[22:23]
	v_fma_f64 v[56:57], v[46:47], s[12:13], v[32:33]
	v_add_f64 v[58:59], v[48:49], -v[22:23]
	v_add_f64 v[60:61], v[30:31], -v[26:27]
	v_fma_f64 v[32:33], v[46:47], s[14:15], v[32:33]
	v_fma_f64 v[62:63], v[50:51], s[14:15], v[38:39]
	v_add_f64 v[22:23], v[22:23], -v[48:49]
	v_add_f64 v[48:49], v[26:27], -v[30:31]
	v_fma_f64 v[38:39], v[50:51], s[12:13], v[38:39]
	v_fma_f64 v[28:29], v[84:85], s[10:11], v[28:29]
	v_add_f64 v[26:27], v[36:37], v[26:27]
	v_fma_f64 v[56:57], v[50:51], s[10:11], v[56:57]
	v_add_f64 v[58:59], v[58:59], v[60:61]
	v_fma_f64 v[50:51], v[50:51], s[6:7], v[32:33]
	v_fma_f64 v[60:61], v[46:47], s[10:11], v[62:63]
	v_add_f64 v[48:49], v[22:23], v[48:49]
	v_fma_f64 v[46:47], v[46:47], s[6:7], v[38:39]
	v_fma_f64 v[20:21], v[34:35], s[4:5], v[20:21]
	;; [unrolled: 1-line block ×5, first 2 shown]
	v_add_f64 v[26:27], v[26:27], v[30:31]
	v_fma_f64 v[22:23], v[58:59], s[4:5], v[56:57]
	v_fma_f64 v[34:35], v[58:59], s[4:5], v[50:51]
	;; [unrolled: 1-line block ×4, first 2 shown]
	v_mov_b32_e32 v44, 4
	v_lshlrev_b32_sdwa v41, v44, v41 dst_sel:DWORD dst_unused:UNUSED_PAD src0_sel:DWORD src1_sel:BYTE_0
	v_add3_u32 v40, 0, v40, v41
	ds_write_b128 v40, v[0:3]
	ds_write_b128 v40, v[4:7] offset:160
	ds_write_b128 v40, v[8:11] offset:320
	;; [unrolled: 1-line block ×4, first 2 shown]
	v_mul_u32_u24_e32 v40, 0x320, v42
	v_lshlrev_b32_sdwa v41, v44, v43 dst_sel:DWORD dst_unused:UNUSED_PAD src0_sel:DWORD src1_sel:BYTE_0
	v_add3_u32 v40, 0, v40, v41
	ds_write_b128 v40, v[24:27]
	ds_write_b128 v40, v[20:23] offset:160
	ds_write_b128 v40, v[36:39] offset:320
	;; [unrolled: 1-line block ×4, first 2 shown]
	s_waitcnt lgkmcnt(0)
	s_barrier
	s_waitcnt lgkmcnt(0)
                                        ; implicit-def: $vgpr66_vgpr67
                                        ; implicit-def: $vgpr62_vgpr63
                                        ; implicit-def: $vgpr58_vgpr59
                                        ; implicit-def: $vgpr50_vgpr51
                                        ; implicit-def: $vgpr54_vgpr55
                                        ; implicit-def: $vgpr46_vgpr47
                                        ; implicit-def: $vgpr42_vgpr43
	s_and_saveexec_b64 s[4:5], vcc
	s_cbranch_execz .LBB0_19
; %bb.18:
	ds_read_b128 v[0:3], v184
	ds_read_b128 v[4:7], v184 offset:800
	ds_read_b128 v[8:11], v184 offset:1600
	;; [unrolled: 1-line block ×16, first 2 shown]
.LBB0_19:
	s_or_b64 exec, exec, s[4:5]
	s_waitcnt lgkmcnt(0)
	s_barrier
	s_and_saveexec_b64 s[4:5], vcc
	s_cbranch_execz .LBB0_21
; %bb.20:
	v_add_u32_e32 v69, 0xfffffce0, v68
	v_cndmask_b32_e32 v68, v69, v68, vcc
	v_mov_b32_e32 v69, 0
	v_lshlrev_b64 v[68:69], 4, v[68:69]
	v_mov_b32_e32 v70, s9
	v_add_co_u32_e32 v100, vcc, s8, v68
	v_addc_co_u32_e32 v101, vcc, v70, v69, vcc
	global_load_dwordx4 v[68:71], v[100:101], off offset:752
	global_load_dwordx4 v[72:75], v[100:101], off offset:768
	;; [unrolled: 1-line block ×16, first 2 shown]
	s_mov_b32 s6, 0x7faef3
	s_mov_b32 s7, 0xbfef7484
	;; [unrolled: 1-line block ×48, first 2 shown]
	s_waitcnt vmcnt(15)
	v_mul_f64 v[100:101], v[28:29], v[70:71]
	v_mul_f64 v[164:165], v[30:31], v[70:71]
	s_waitcnt vmcnt(14)
	v_mul_f64 v[162:163], v[32:33], v[74:75]
	v_mul_f64 v[180:181], v[34:35], v[74:75]
	;; [unrolled: 3-line block ×5, first 2 shown]
	s_waitcnt vmcnt(8)
	v_mul_f64 v[90:91], v[52:53], v[106:107]
	s_waitcnt vmcnt(4)
	v_mul_f64 v[150:151], v[4:5], v[124:125]
	;; [unrolled: 2-line block ×3, first 2 shown]
	v_mul_f64 v[144:145], v[54:55], v[106:107]
	v_mul_f64 v[124:125], v[6:7], v[124:125]
	s_waitcnt vmcnt(1)
	v_mul_f64 v[154:155], v[8:9], v[136:137]
	v_mul_f64 v[160:161], v[66:67], v[128:129]
	s_waitcnt vmcnt(0)
	v_mul_f64 v[176:177], v[60:61], v[140:141]
	v_fma_f64 v[128:129], v[26:27], v[84:85], v[82:83]
	v_fma_f64 v[116:117], v[24:25], v[84:85], -v[86:87]
	v_fma_f64 v[84:85], v[54:55], v[104:105], v[90:91]
	v_fma_f64 v[168:169], v[6:7], v[122:123], v[150:151]
	;; [unrolled: 1-line block ×3, first 2 shown]
	v_mul_f64 v[148:149], v[12:13], v[120:121]
	v_mul_f64 v[172:173], v[56:57], v[132:133]
	;; [unrolled: 1-line block ×4, first 2 shown]
	v_fma_f64 v[106:107], v[38:39], v[80:81], v[70:71]
	v_fma_f64 v[70:71], v[52:53], v[104:105], -v[144:145]
	v_fma_f64 v[170:171], v[4:5], v[122:123], -v[124:125]
	;; [unrolled: 1-line block ×3, first 2 shown]
	v_fma_f64 v[160:161], v[10:11], v[134:135], v[154:155]
	v_fma_f64 v[62:63], v[62:63], v[138:139], v[176:177]
	v_add_f64 v[178:179], v[168:169], v[54:55]
	v_mul_f64 v[146:147], v[16:17], v[110:111]
	v_mul_f64 v[174:175], v[48:49], v[114:115]
	;; [unrolled: 1-line block ×4, first 2 shown]
	v_fma_f64 v[152:153], v[14:15], v[118:119], v[148:149]
	v_fma_f64 v[154:155], v[8:9], v[134:135], -v[136:137]
	v_fma_f64 v[60:61], v[60:61], v[138:139], -v[182:183]
	v_fma_f64 v[58:59], v[58:59], v[130:131], v[172:173]
	v_add_f64 v[172:173], v[170:171], -v[52:53]
	v_add_f64 v[148:149], v[160:161], v[62:63]
	v_mul_f64 v[4:5], v[178:179], s[6:7]
	v_mul_f64 v[110:111], v[18:19], v[110:111]
	;; [unrolled: 1-line block ×3, first 2 shown]
	v_fma_f64 v[146:147], v[18:19], v[108:109], v[146:147]
	v_fma_f64 v[150:151], v[12:13], v[118:119], -v[120:121]
	v_fma_f64 v[56:57], v[56:57], v[130:131], -v[132:133]
	v_fma_f64 v[90:91], v[50:51], v[112:113], v[174:175]
	v_add_f64 v[176:177], v[168:169], -v[54:55]
	v_add_f64 v[86:87], v[154:155], -v[60:61]
	v_add_f64 v[144:145], v[152:153], v[58:59]
	v_mul_f64 v[6:7], v[148:149], s[10:11]
	v_fma_f64 v[8:9], v[172:173], s[8:9], v[4:5]
	v_fma_f64 v[102:103], v[36:37], v[80:81], -v[74:75]
	v_fma_f64 v[140:141], v[16:17], v[108:109], -v[110:111]
	;; [unrolled: 1-line block ×3, first 2 shown]
	v_add_f64 v[174:175], v[170:171], v[52:53]
	v_add_f64 v[126:127], v[160:161], -v[62:63]
	v_add_f64 v[74:75], v[150:151], -v[56:57]
	v_add_f64 v[124:125], v[146:147], v[90:91]
	v_mul_f64 v[10:11], v[176:177], s[20:21]
	v_mul_f64 v[12:13], v[144:145], s[14:15]
	v_fma_f64 v[14:15], v[86:87], s[12:13], v[6:7]
	v_add_f64 v[8:9], v[2:3], v[8:9]
	v_mul_f64 v[158:159], v[20:21], v[94:95]
	v_mul_f64 v[166:167], v[44:45], v[98:99]
	v_add_f64 v[64:65], v[154:155], v[60:61]
	v_add_f64 v[120:121], v[152:153], -v[58:59]
	v_add_f64 v[50:51], v[140:141], -v[82:83]
	v_add_f64 v[118:119], v[128:129], v[84:85]
	v_mul_f64 v[16:17], v[126:127], s[16:17]
	v_mul_f64 v[18:19], v[124:125], s[28:29]
	v_fma_f64 v[24:25], v[174:175], s[6:7], v[10:11]
	v_fma_f64 v[26:27], v[74:75], s[18:19], v[12:13]
	v_add_f64 v[8:9], v[14:15], v[8:9]
	v_mul_f64 v[94:95], v[22:23], v[94:95]
	v_mul_f64 v[98:99], v[46:47], v[98:99]
	v_fma_f64 v[100:101], v[30:31], v[68:69], v[100:101]
	v_add_f64 v[80:81], v[150:151], v[56:57]
	v_add_f64 v[48:49], v[116:117], -v[70:71]
	v_mul_f64 v[14:15], v[120:121], s[22:23]
	v_mul_f64 v[30:31], v[118:119], s[24:25]
	v_fma_f64 v[36:37], v[64:65], s[10:11], v[16:17]
	v_fma_f64 v[38:39], v[50:51], s[38:39], v[18:19]
	v_add_f64 v[24:25], v[0:1], v[24:25]
	v_add_f64 v[8:9], v[26:27], v[8:9]
	v_fma_f64 v[158:159], v[22:23], v[92:93], v[158:159]
	v_fma_f64 v[108:109], v[46:47], v[96:97], v[166:167]
	v_add_f64 v[130:131], v[146:147], -v[90:91]
	v_fma_f64 v[114:115], v[42:43], v[88:89], v[142:143]
	v_fma_f64 v[22:23], v[80:81], s[14:15], v[14:15]
	v_fma_f64 v[26:27], v[48:49], s[26:27], v[30:31]
	v_add_f64 v[24:25], v[36:37], v[24:25]
	v_add_f64 v[8:9], v[38:39], v[8:9]
	v_fma_f64 v[112:113], v[40:41], v[88:89], -v[156:157]
	v_fma_f64 v[156:157], v[20:21], v[92:93], -v[94:95]
	v_add_f64 v[134:135], v[158:159], v[108:109]
	v_fma_f64 v[104:105], v[44:45], v[96:97], -v[98:99]
	v_add_f64 v[88:89], v[140:141], v[82:83]
	v_mul_f64 v[20:21], v[130:131], s[30:31]
	v_add_f64 v[142:143], v[128:129], -v[84:85]
	v_add_f64 v[22:23], v[22:23], v[24:25]
	v_add_f64 v[8:9], v[26:27], v[8:9]
	;; [unrolled: 1-line block ×3, first 2 shown]
	v_mul_f64 v[24:25], v[134:135], s[34:35]
	v_add_f64 v[92:93], v[156:157], -v[104:105]
	v_add_f64 v[96:97], v[116:117], v[70:71]
	v_fma_f64 v[26:27], v[88:89], s[28:29], v[20:21]
	v_mul_f64 v[36:37], v[142:143], s[46:47]
	v_add_f64 v[122:123], v[158:159], -v[108:109]
	v_fma_f64 v[162:163], v[34:35], v[72:73], v[162:163]
	v_fma_f64 v[4:5], v[172:173], s[20:21], v[4:5]
	v_fma_f64 v[10:11], v[174:175], s[6:7], -v[10:11]
	v_fma_f64 v[38:39], v[92:93], s[36:37], v[24:25]
	v_mul_f64 v[40:41], v[138:139], s[40:41]
	v_add_f64 v[66:67], v[102:103], -v[112:113]
	v_add_f64 v[22:23], v[26:27], v[22:23]
	v_fma_f64 v[26:27], v[96:97], s[24:25], v[36:37]
	v_add_f64 v[94:95], v[156:157], v[104:105]
	v_mul_f64 v[42:43], v[122:123], s[44:45]
	v_add_f64 v[132:133], v[106:107], -v[114:115]
	v_fma_f64 v[166:167], v[28:29], v[68:69], -v[164:165]
	v_fma_f64 v[164:165], v[32:33], v[72:73], -v[180:181]
	v_fma_f64 v[6:7], v[86:87], s[16:17], v[6:7]
	v_add_f64 v[4:5], v[2:3], v[4:5]
	v_add_f64 v[72:73], v[100:101], v[162:163]
	v_fma_f64 v[16:17], v[64:65], s[10:11], -v[16:17]
	v_add_f64 v[10:11], v[0:1], v[10:11]
	v_add_f64 v[8:9], v[38:39], v[8:9]
	v_fma_f64 v[34:35], v[66:67], s[42:43], v[40:41]
	v_add_f64 v[22:23], v[26:27], v[22:23]
	v_fma_f64 v[26:27], v[94:95], s[34:35], v[42:43]
	v_add_f64 v[98:99], v[102:103], v[112:113]
	v_mul_f64 v[38:39], v[132:133], s[48:49]
	v_add_f64 v[4:5], v[6:7], v[4:5]
	v_fma_f64 v[6:7], v[74:75], s[22:23], v[12:13]
	v_mul_f64 v[12:13], v[72:73], s[50:51]
	v_add_f64 v[68:69], v[166:167], -v[164:165]
	v_add_f64 v[136:137], v[100:101], -v[162:163]
	v_add_f64 v[10:11], v[16:17], v[10:11]
	v_fma_f64 v[14:15], v[80:81], s[14:15], -v[14:15]
	v_add_f64 v[8:9], v[34:35], v[8:9]
	v_add_f64 v[22:23], v[26:27], v[22:23]
	v_fma_f64 v[26:27], v[98:99], s[40:41], v[38:39]
	v_add_f64 v[4:5], v[6:7], v[4:5]
	v_fma_f64 v[6:7], v[50:51], s[30:31], v[18:19]
	v_fma_f64 v[18:19], v[68:69], s[54:55], v[12:13]
	v_add_f64 v[110:111], v[166:167], v[164:165]
	v_mul_f64 v[16:17], v[136:137], s[52:53]
	v_add_f64 v[10:11], v[14:15], v[10:11]
	v_fma_f64 v[14:15], v[88:89], s[28:29], -v[20:21]
	v_fma_f64 v[28:29], v[48:49], s[46:47], v[30:31]
	v_mul_f64 v[30:31], v[178:179], s[14:15]
	v_add_f64 v[4:5], v[6:7], v[4:5]
	v_add_f64 v[22:23], v[26:27], v[22:23]
	;; [unrolled: 1-line block ×3, first 2 shown]
	v_fma_f64 v[8:9], v[110:111], s[50:51], v[16:17]
	v_mul_f64 v[18:19], v[176:177], s[22:23]
	v_add_f64 v[10:11], v[14:15], v[10:11]
	v_fma_f64 v[14:15], v[96:97], s[24:25], -v[36:37]
	v_fma_f64 v[26:27], v[172:173], s[18:19], v[30:31]
	v_add_f64 v[20:21], v[28:29], v[4:5]
	v_mul_f64 v[28:29], v[148:149], s[34:35]
	v_fma_f64 v[24:25], v[92:93], s[44:45], v[24:25]
	v_add_f64 v[4:5], v[8:9], v[22:23]
	v_fma_f64 v[8:9], v[174:175], s[14:15], v[18:19]
	v_mul_f64 v[22:23], v[126:127], s[44:45]
	v_add_f64 v[10:11], v[14:15], v[10:11]
	v_fma_f64 v[14:15], v[94:95], s[34:35], -v[42:43]
	v_add_f64 v[26:27], v[2:3], v[26:27]
	v_fma_f64 v[32:33], v[86:87], s[36:37], v[28:29]
	v_mul_f64 v[34:35], v[144:145], s[50:51]
	v_add_f64 v[20:21], v[24:25], v[20:21]
	v_add_f64 v[8:9], v[0:1], v[8:9]
	v_fma_f64 v[24:25], v[64:65], s[34:35], v[22:23]
	v_mul_f64 v[36:37], v[120:121], s[54:55]
	v_fma_f64 v[40:41], v[66:67], s[48:49], v[40:41]
	v_add_f64 v[10:11], v[14:15], v[10:11]
	v_fma_f64 v[14:15], v[98:99], s[40:41], -v[38:39]
	v_add_f64 v[26:27], v[32:33], v[26:27]
	v_fma_f64 v[32:33], v[74:75], s[52:53], v[34:35]
	v_mul_f64 v[42:43], v[124:125], s[24:25]
	v_add_f64 v[8:9], v[24:25], v[8:9]
	v_fma_f64 v[24:25], v[80:81], s[50:51], v[36:37]
	v_mul_f64 v[38:39], v[130:131], s[26:27]
	v_add_f64 v[20:21], v[40:41], v[20:21]
	v_add_f64 v[14:15], v[14:15], v[10:11]
	v_fma_f64 v[10:11], v[68:69], s[52:53], v[12:13]
	v_add_f64 v[26:27], v[32:33], v[26:27]
	v_fma_f64 v[32:33], v[50:51], s[46:47], v[42:43]
	v_mul_f64 v[44:45], v[118:119], s[10:11]
	v_add_f64 v[8:9], v[24:25], v[8:9]
	v_fma_f64 v[12:13], v[88:89], s[24:25], v[38:39]
	v_mul_f64 v[24:25], v[142:143], s[12:13]
	v_mul_f64 v[40:41], v[134:135], s[6:7]
	v_add_f64 v[10:11], v[10:11], v[20:21]
	v_fma_f64 v[20:21], v[172:173], s[22:23], v[30:31]
	v_add_f64 v[26:27], v[32:33], v[26:27]
	v_fma_f64 v[32:33], v[48:49], s[16:17], v[44:45]
	v_mul_f64 v[30:31], v[122:123], s[20:21]
	v_add_f64 v[8:9], v[12:13], v[8:9]
	v_fma_f64 v[12:13], v[96:97], s[10:11], v[24:25]
	v_fma_f64 v[28:29], v[86:87], s[44:45], v[28:29]
	v_fma_f64 v[18:19], v[174:175], s[14:15], -v[18:19]
	v_add_f64 v[20:21], v[2:3], v[20:21]
	v_fma_f64 v[16:17], v[110:111], s[50:51], -v[16:17]
	v_add_f64 v[26:27], v[32:33], v[26:27]
	v_fma_f64 v[32:33], v[92:93], s[8:9], v[40:41]
	v_mul_f64 v[46:47], v[138:139], s[28:29]
	v_add_f64 v[8:9], v[12:13], v[8:9]
	v_fma_f64 v[12:13], v[94:95], s[6:7], v[30:31]
	v_mul_f64 v[180:181], v[132:133], s[30:31]
	v_fma_f64 v[22:23], v[64:65], s[34:35], -v[22:23]
	v_add_f64 v[18:19], v[0:1], v[18:19]
	v_add_f64 v[20:21], v[28:29], v[20:21]
	v_fma_f64 v[28:29], v[74:75], s[54:55], v[34:35]
	v_add_f64 v[26:27], v[32:33], v[26:27]
	v_fma_f64 v[32:33], v[66:67], s[38:39], v[46:47]
	;; [unrolled: 2-line block ×3, first 2 shown]
	v_mul_f64 v[182:183], v[72:73], s[40:41]
	v_add_f64 v[8:9], v[16:17], v[14:15]
	v_add_f64 v[14:15], v[22:23], v[18:19]
	v_fma_f64 v[16:17], v[80:81], s[50:51], -v[36:37]
	v_add_f64 v[18:19], v[28:29], v[20:21]
	v_fma_f64 v[20:21], v[50:51], s[26:27], v[42:43]
	v_add_f64 v[22:23], v[32:33], v[26:27]
	v_add_f64 v[12:13], v[34:35], v[12:13]
	v_fma_f64 v[26:27], v[68:69], s[42:43], v[182:183]
	v_mul_f64 v[32:33], v[178:179], s[24:25]
	v_fma_f64 v[34:35], v[88:89], s[24:25], -v[38:39]
	v_add_f64 v[16:17], v[16:17], v[14:15]
	v_mul_f64 v[36:37], v[176:177], s[46:47]
	v_add_f64 v[18:19], v[20:21], v[18:19]
	v_fma_f64 v[20:21], v[48:49], s[12:13], v[44:45]
	v_mul_f64 v[38:39], v[148:149], s[40:41]
	v_add_f64 v[14:15], v[26:27], v[22:23]
	v_fma_f64 v[26:27], v[172:173], s[26:27], v[32:33]
	v_fma_f64 v[24:25], v[96:97], s[10:11], -v[24:25]
	v_add_f64 v[16:17], v[34:35], v[16:17]
	v_mul_f64 v[34:35], v[126:127], s[42:43]
	v_mul_f64 v[28:29], v[136:137], s[48:49]
	v_add_f64 v[18:19], v[20:21], v[18:19]
	v_fma_f64 v[20:21], v[174:175], s[24:25], v[36:37]
	v_fma_f64 v[40:41], v[92:93], s[20:21], v[40:41]
	v_add_f64 v[26:27], v[2:3], v[26:27]
	v_fma_f64 v[42:43], v[86:87], s[48:49], v[38:39]
	v_mul_f64 v[44:45], v[144:145], s[10:11]
	v_add_f64 v[16:17], v[24:25], v[16:17]
	v_fma_f64 v[24:25], v[94:95], s[6:7], -v[30:31]
	v_fma_f64 v[30:31], v[64:65], s[40:41], v[34:35]
	v_add_f64 v[20:21], v[0:1], v[20:21]
	v_mul_f64 v[185:186], v[120:121], s[12:13]
	v_fma_f64 v[22:23], v[110:111], s[40:41], v[28:29]
	v_add_f64 v[18:19], v[40:41], v[18:19]
	v_add_f64 v[26:27], v[42:43], v[26:27]
	v_fma_f64 v[40:41], v[74:75], s[16:17], v[44:45]
	v_mul_f64 v[42:43], v[124:125], s[14:15]
	v_add_f64 v[16:17], v[24:25], v[16:17]
	v_add_f64 v[20:21], v[30:31], v[20:21]
	v_fma_f64 v[24:25], v[80:81], s[10:11], v[185:186]
	v_mul_f64 v[30:31], v[130:131], s[22:23]
	v_fma_f64 v[46:47], v[66:67], s[30:31], v[46:47]
	v_fma_f64 v[180:181], v[98:99], s[28:29], -v[180:181]
	v_add_f64 v[26:27], v[40:41], v[26:27]
	v_fma_f64 v[40:41], v[50:51], s[18:19], v[42:43]
	v_mul_f64 v[187:188], v[118:119], s[50:51]
	v_add_f64 v[12:13], v[22:23], v[12:13]
	v_add_f64 v[20:21], v[24:25], v[20:21]
	v_fma_f64 v[22:23], v[88:89], s[14:15], v[30:31]
	v_add_f64 v[18:19], v[46:47], v[18:19]
	v_add_f64 v[16:17], v[180:181], v[16:17]
	v_mul_f64 v[46:47], v[134:135], s[28:29]
	v_add_f64 v[26:27], v[40:41], v[26:27]
	v_fma_f64 v[40:41], v[48:49], s[54:55], v[187:188]
	v_fma_f64 v[180:181], v[68:69], s[48:49], v[182:183]
	v_fma_f64 v[28:29], v[110:111], s[40:41], -v[28:29]
	v_add_f64 v[20:21], v[22:23], v[20:21]
	v_fma_f64 v[22:23], v[172:173], s[46:47], v[32:33]
	v_fma_f64 v[38:39], v[86:87], s[42:43], v[38:39]
	v_fma_f64 v[36:37], v[174:175], s[24:25], -v[36:37]
	v_fma_f64 v[34:35], v[64:65], s[40:41], -v[34:35]
	v_add_f64 v[26:27], v[40:41], v[26:27]
	v_fma_f64 v[40:41], v[92:93], s[30:31], v[46:47]
	v_add_f64 v[18:19], v[180:181], v[18:19]
	v_mul_f64 v[180:181], v[138:139], s[6:7]
	v_add_f64 v[22:23], v[2:3], v[22:23]
	v_add_f64 v[16:17], v[28:29], v[16:17]
	v_fma_f64 v[28:29], v[74:75], s[12:13], v[44:45]
	v_add_f64 v[36:37], v[0:1], v[36:37]
	v_mul_f64 v[24:25], v[142:143], s[52:53]
	v_add_f64 v[26:27], v[40:41], v[26:27]
	v_fma_f64 v[30:31], v[88:89], s[14:15], -v[30:31]
	v_fma_f64 v[40:41], v[66:67], s[8:9], v[180:181]
	v_add_f64 v[22:23], v[38:39], v[22:23]
	v_mul_f64 v[193:194], v[144:145], s[28:29]
	v_mul_f64 v[195:196], v[126:127], s[18:19]
	v_add_f64 v[34:35], v[34:35], v[36:37]
	v_fma_f64 v[36:37], v[80:81], s[10:11], -v[185:186]
	v_mul_f64 v[185:186], v[148:149], s[14:15]
	v_fma_f64 v[32:33], v[96:97], s[50:51], v[24:25]
	v_add_f64 v[26:27], v[40:41], v[26:27]
	v_mul_f64 v[40:41], v[178:179], s[40:41]
	v_add_f64 v[22:23], v[28:29], v[22:23]
	v_fma_f64 v[28:29], v[50:51], s[22:23], v[42:43]
	v_mul_f64 v[182:183], v[122:123], s[38:39]
	v_add_f64 v[34:35], v[36:37], v[34:35]
	v_mul_f64 v[38:39], v[72:73], s[34:35]
	v_fma_f64 v[46:47], v[92:93], s[38:39], v[46:47]
	v_fma_f64 v[24:25], v[96:97], s[50:51], -v[24:25]
	v_fma_f64 v[44:45], v[172:173], s[42:43], v[40:41]
	v_fma_f64 v[197:198], v[64:65], s[14:15], v[195:196]
	v_add_f64 v[22:23], v[28:29], v[22:23]
	v_fma_f64 v[28:29], v[48:49], s[52:53], v[187:188]
	v_mul_f64 v[187:188], v[176:177], s[48:49]
	v_add_f64 v[30:31], v[30:31], v[34:35]
	v_mul_f64 v[199:200], v[120:121], s[30:31]
	v_add_f64 v[20:21], v[32:33], v[20:21]
	v_add_f64 v[36:37], v[2:3], v[44:45]
	v_fma_f64 v[44:45], v[86:87], s[22:23], v[185:186]
	v_fma_f64 v[32:33], v[94:95], s[28:29], v[182:183]
	v_add_f64 v[22:23], v[28:29], v[22:23]
	v_fma_f64 v[28:29], v[174:175], s[40:41], v[187:188]
	v_mul_f64 v[189:190], v[132:133], s[20:21]
	v_fma_f64 v[42:43], v[68:69], s[36:37], v[38:39]
	v_fma_f64 v[180:181], v[66:67], s[20:21], v[180:181]
	v_mul_f64 v[201:202], v[134:135], s[50:51]
	v_add_f64 v[34:35], v[44:45], v[36:37]
	v_fma_f64 v[36:37], v[74:75], s[38:39], v[193:194]
	v_mul_f64 v[44:45], v[124:125], s[34:35]
	v_add_f64 v[28:29], v[0:1], v[28:29]
	v_add_f64 v[46:47], v[46:47], v[22:23]
	;; [unrolled: 1-line block ×3, first 2 shown]
	v_fma_f64 v[24:25], v[94:95], s[28:29], -v[182:183]
	v_fma_f64 v[182:183], v[80:81], s[28:29], v[199:200]
	v_add_f64 v[20:21], v[32:33], v[20:21]
	v_add_f64 v[30:31], v[36:37], v[34:35]
	v_fma_f64 v[34:35], v[50:51], s[44:45], v[44:45]
	v_mul_f64 v[36:37], v[118:119], s[6:7]
	v_add_f64 v[28:29], v[197:198], v[28:29]
	v_mul_f64 v[197:198], v[130:131], s[36:37]
	v_fma_f64 v[32:33], v[98:99], s[6:7], v[189:190]
	v_add_f64 v[24:25], v[24:25], v[22:23]
	v_add_f64 v[22:23], v[42:43], v[26:27]
	v_mul_f64 v[42:43], v[142:143], s[20:21]
	v_add_f64 v[30:31], v[34:35], v[30:31]
	v_fma_f64 v[34:35], v[48:49], s[8:9], v[36:37]
	v_add_f64 v[28:29], v[182:183], v[28:29]
	v_fma_f64 v[182:183], v[88:89], s[34:35], v[197:198]
	v_add_f64 v[20:21], v[32:33], v[20:21]
	v_mul_f64 v[32:33], v[136:137], s[44:45]
	v_fma_f64 v[189:190], v[98:99], s[6:7], -v[189:190]
	v_add_f64 v[26:27], v[180:181], v[46:47]
	v_fma_f64 v[40:41], v[172:173], s[48:49], v[40:41]
	v_add_f64 v[30:31], v[34:35], v[30:31]
	v_fma_f64 v[34:35], v[92:93], s[54:55], v[201:202]
	v_add_f64 v[28:29], v[182:183], v[28:29]
	v_fma_f64 v[46:47], v[96:97], s[6:7], v[42:43]
	v_mul_f64 v[180:181], v[122:123], s[52:53]
	v_fma_f64 v[38:39], v[68:69], s[44:45], v[38:39]
	v_mul_f64 v[182:183], v[138:139], s[10:11]
	v_fma_f64 v[191:192], v[110:111], s[34:35], v[32:33]
	v_add_f64 v[24:25], v[189:190], v[24:25]
	v_fma_f64 v[32:33], v[110:111], s[34:35], -v[32:33]
	v_add_f64 v[30:31], v[34:35], v[30:31]
	v_fma_f64 v[34:35], v[86:87], s[18:19], v[185:186]
	v_add_f64 v[40:41], v[2:3], v[40:41]
	v_add_f64 v[28:29], v[46:47], v[28:29]
	v_fma_f64 v[46:47], v[94:95], s[50:51], v[180:181]
	v_mul_f64 v[185:186], v[132:133], s[12:13]
	v_fma_f64 v[189:190], v[66:67], s[16:17], v[182:183]
	v_add_f64 v[26:27], v[38:39], v[26:27]
	v_mul_f64 v[38:39], v[72:73], s[24:25]
	v_add_f64 v[24:25], v[32:33], v[24:25]
	v_add_f64 v[32:33], v[34:35], v[40:41]
	v_fma_f64 v[34:35], v[74:75], s[30:31], v[193:194]
	v_add_f64 v[28:29], v[46:47], v[28:29]
	v_fma_f64 v[40:41], v[98:99], s[10:11], v[185:186]
	v_add_f64 v[30:31], v[189:190], v[30:31]
	v_fma_f64 v[46:47], v[174:175], s[40:41], -v[187:188]
	v_fma_f64 v[187:188], v[68:69], s[26:27], v[38:39]
	v_mul_f64 v[189:190], v[178:179], s[50:51]
	v_add_f64 v[20:21], v[191:192], v[20:21]
	v_mul_f64 v[191:192], v[136:137], s[46:47]
	v_add_f64 v[32:33], v[34:35], v[32:33]
	v_fma_f64 v[34:35], v[50:51], s[36:37], v[44:45]
	v_add_f64 v[28:29], v[40:41], v[28:29]
	v_fma_f64 v[40:41], v[64:65], s[14:15], -v[195:196]
	v_add_f64 v[44:45], v[0:1], v[46:47]
	v_add_f64 v[30:31], v[187:188], v[30:31]
	v_fma_f64 v[46:47], v[172:173], s[52:53], v[189:190]
	v_mul_f64 v[187:188], v[148:149], s[6:7]
	v_fma_f64 v[193:194], v[110:111], s[24:25], v[191:192]
	v_add_f64 v[32:33], v[34:35], v[32:33]
	v_mul_f64 v[195:196], v[176:177], s[54:55]
	v_fma_f64 v[34:35], v[48:49], s[20:21], v[36:37]
	v_add_f64 v[36:37], v[40:41], v[44:45]
	v_fma_f64 v[40:41], v[80:81], s[28:29], -v[199:200]
	v_add_f64 v[44:45], v[2:3], v[46:47]
	v_fma_f64 v[46:47], v[86:87], s[8:9], v[187:188]
	v_mul_f64 v[199:200], v[144:145], s[40:41]
	v_add_f64 v[28:29], v[193:194], v[28:29]
	v_fma_f64 v[193:194], v[174:175], s[50:51], v[195:196]
	v_mul_f64 v[203:204], v[126:127], s[20:21]
	v_add_f64 v[32:33], v[34:35], v[32:33]
	v_add_f64 v[34:35], v[40:41], v[36:37]
	v_fma_f64 v[36:37], v[88:89], s[34:35], -v[197:198]
	v_add_f64 v[40:41], v[46:47], v[44:45]
	v_fma_f64 v[44:45], v[74:75], s[48:49], v[199:200]
	v_mul_f64 v[46:47], v[124:125], s[10:11]
	v_add_f64 v[193:194], v[0:1], v[193:194]
	v_fma_f64 v[197:198], v[64:65], s[6:7], v[203:204]
	v_mul_f64 v[205:206], v[120:121], s[42:43]
	v_fma_f64 v[201:202], v[92:93], s[52:53], v[201:202]
	v_add_f64 v[34:35], v[36:37], v[34:35]
	v_fma_f64 v[36:37], v[96:97], s[6:7], -v[42:43]
	v_add_f64 v[40:41], v[44:45], v[40:41]
	v_fma_f64 v[42:43], v[50:51], s[12:13], v[46:47]
	v_mul_f64 v[44:45], v[118:119], s[34:35]
	v_add_f64 v[193:194], v[197:198], v[193:194]
	v_fma_f64 v[197:198], v[80:81], s[40:41], v[205:206]
	v_mul_f64 v[207:208], v[130:131], s[16:17]
	v_add_f64 v[32:33], v[201:202], v[32:33]
	v_add_f64 v[34:35], v[36:37], v[34:35]
	v_fma_f64 v[36:37], v[94:95], s[50:51], -v[180:181]
	v_add_f64 v[40:41], v[42:43], v[40:41]
	v_fma_f64 v[42:43], v[48:49], s[44:45], v[44:45]
	v_mul_f64 v[180:181], v[134:135], s[14:15]
	v_add_f64 v[193:194], v[197:198], v[193:194]
	v_fma_f64 v[197:198], v[88:89], s[10:11], v[207:208]
	v_mul_f64 v[201:202], v[142:143], s[36:37]
	v_fma_f64 v[182:183], v[66:67], s[12:13], v[182:183]
	v_add_f64 v[34:35], v[36:37], v[34:35]
	v_fma_f64 v[36:37], v[98:99], s[10:11], -v[185:186]
	v_add_f64 v[40:41], v[42:43], v[40:41]
	v_fma_f64 v[42:43], v[92:93], s[18:19], v[180:181]
	v_mul_f64 v[185:186], v[138:139], s[24:25]
	v_add_f64 v[193:194], v[197:198], v[193:194]
	v_fma_f64 v[197:198], v[96:97], s[34:35], v[201:202]
	v_mul_f64 v[209:210], v[122:123], s[22:23]
	v_add_f64 v[32:33], v[182:183], v[32:33]
	v_add_f64 v[36:37], v[36:37], v[34:35]
	v_fma_f64 v[34:35], v[68:69], s[46:47], v[38:39]
	v_add_f64 v[38:39], v[42:43], v[40:41]
	v_fma_f64 v[42:43], v[172:173], s[54:55], v[189:190]
	v_fma_f64 v[40:41], v[66:67], s[46:47], v[185:186]
	v_add_f64 v[182:183], v[197:198], v[193:194]
	v_fma_f64 v[189:190], v[94:95], s[14:15], v[209:210]
	v_mul_f64 v[193:194], v[132:133], s[26:27]
	v_fma_f64 v[191:192], v[110:111], s[24:25], -v[191:192]
	v_fma_f64 v[187:188], v[86:87], s[20:21], v[187:188]
	v_add_f64 v[34:35], v[34:35], v[32:33]
	v_add_f64 v[42:43], v[2:3], v[42:43]
	;; [unrolled: 1-line block ×3, first 2 shown]
	v_mul_f64 v[213:214], v[126:127], s[46:47]
	v_add_f64 v[40:41], v[189:190], v[182:183]
	v_fma_f64 v[182:183], v[98:99], s[24:25], v[193:194]
	v_add_f64 v[32:33], v[191:192], v[36:37]
	v_mul_f64 v[36:37], v[178:179], s[34:35]
	v_mul_f64 v[191:192], v[176:177], s[36:37]
	v_add_f64 v[42:43], v[187:188], v[42:43]
	v_fma_f64 v[187:188], v[74:75], s[42:43], v[199:200]
	v_mul_f64 v[199:200], v[148:149], s[24:25]
	v_fma_f64 v[46:47], v[50:51], s[16:17], v[46:47]
	v_add_f64 v[40:41], v[182:183], v[40:41]
	v_fma_f64 v[182:183], v[174:175], s[50:51], -v[195:196]
	v_fma_f64 v[195:196], v[172:173], s[44:45], v[36:37]
	v_fma_f64 v[203:204], v[64:65], s[6:7], -v[203:204]
	v_mul_f64 v[217:218], v[144:145], s[6:7]
	v_add_f64 v[42:43], v[187:188], v[42:43]
	v_fma_f64 v[187:188], v[174:175], s[34:35], v[191:192]
	v_fma_f64 v[215:216], v[86:87], s[26:27], v[199:200]
	v_fma_f64 v[219:220], v[64:65], s[24:25], v[213:214]
	v_add_f64 v[182:183], v[0:1], v[182:183]
	v_add_f64 v[195:196], v[2:3], v[195:196]
	v_mul_f64 v[221:222], v[120:121], s[8:9]
	v_fma_f64 v[44:45], v[48:49], s[36:37], v[44:45]
	v_add_f64 v[42:43], v[46:47], v[42:43]
	v_add_f64 v[187:188], v[0:1], v[187:188]
	v_mul_f64 v[223:224], v[142:143], s[30:31]
	v_mul_f64 v[197:198], v[72:73], s[28:29]
	v_add_f64 v[46:47], v[203:204], v[182:183]
	v_fma_f64 v[182:183], v[80:81], s[40:41], -v[205:206]
	v_add_f64 v[195:196], v[215:216], v[195:196]
	v_fma_f64 v[203:204], v[74:75], s[20:21], v[217:218]
	v_mul_f64 v[205:206], v[124:125], s[40:41]
	v_add_f64 v[187:188], v[219:220], v[187:188]
	v_fma_f64 v[215:216], v[80:81], s[6:7], v[221:222]
	v_mul_f64 v[219:220], v[130:131], s[42:43]
	v_add_f64 v[42:43], v[44:45], v[42:43]
	v_add_f64 v[46:47], v[182:183], v[46:47]
	v_fma_f64 v[182:183], v[88:89], s[10:11], -v[207:208]
	v_add_f64 v[195:196], v[203:204], v[195:196]
	v_fma_f64 v[203:204], v[50:51], s[48:49], v[205:206]
	v_mul_f64 v[207:208], v[118:119], s[28:29]
	v_add_f64 v[187:188], v[215:216], v[187:188]
	v_fma_f64 v[215:216], v[88:89], s[40:41], v[219:220]
	v_fma_f64 v[180:181], v[92:93], s[22:23], v[180:181]
	v_mul_f64 v[225:226], v[132:133], s[54:55]
	v_add_f64 v[44:45], v[182:183], v[46:47]
	v_fma_f64 v[46:47], v[96:97], s[34:35], -v[201:202]
	v_add_f64 v[182:183], v[203:204], v[195:196]
	v_fma_f64 v[195:196], v[48:49], s[38:39], v[207:208]
	v_mul_f64 v[201:202], v[134:135], s[10:11]
	v_add_f64 v[187:188], v[215:216], v[187:188]
	v_fma_f64 v[203:204], v[96:97], s[28:29], v[223:224]
	v_mul_f64 v[215:216], v[122:123], s[12:13]
	v_fma_f64 v[189:190], v[68:69], s[38:39], v[197:198]
	v_add_f64 v[44:45], v[46:47], v[44:45]
	v_fma_f64 v[46:47], v[94:95], s[14:15], -v[209:210]
	v_add_f64 v[182:183], v[195:196], v[182:183]
	v_fma_f64 v[195:196], v[92:93], s[16:17], v[201:202]
	v_mul_f64 v[209:210], v[138:139], s[50:51]
	v_add_f64 v[187:188], v[203:204], v[187:188]
	v_fma_f64 v[203:204], v[94:95], s[10:11], v[215:216]
	v_mul_f64 v[211:212], v[136:137], s[30:31]
	v_add_f64 v[42:43], v[180:181], v[42:43]
	v_fma_f64 v[185:186], v[66:67], s[26:27], v[185:186]
	v_add_f64 v[44:45], v[46:47], v[44:45]
	v_fma_f64 v[46:47], v[98:99], s[24:25], -v[193:194]
	v_add_f64 v[193:194], v[195:196], v[182:183]
	v_fma_f64 v[195:196], v[66:67], s[52:53], v[209:210]
	v_add_f64 v[187:188], v[203:204], v[187:188]
	v_mul_f64 v[182:183], v[72:73], s[14:15]
	v_fma_f64 v[203:204], v[98:99], s[50:51], v[225:226]
	v_mul_f64 v[180:181], v[136:137], s[22:23]
	v_add_f64 v[38:39], v[189:190], v[38:39]
	v_fma_f64 v[189:190], v[110:111], s[28:29], v[211:212]
	v_add_f64 v[42:43], v[185:186], v[42:43]
	v_add_f64 v[44:45], v[46:47], v[44:45]
	v_fma_f64 v[46:47], v[68:69], s[30:31], v[197:198]
	v_fma_f64 v[185:186], v[110:111], s[28:29], -v[211:212]
	v_add_f64 v[193:194], v[195:196], v[193:194]
	v_fma_f64 v[195:196], v[68:69], s[18:19], v[182:183]
	v_add_f64 v[187:188], v[203:204], v[187:188]
	v_fma_f64 v[197:198], v[110:111], s[14:15], v[180:181]
	v_fma_f64 v[203:204], v[172:173], s[36:37], v[36:37]
	v_add_f64 v[36:37], v[189:190], v[40:41]
	v_mul_f64 v[189:190], v[178:179], s[28:29]
	v_add_f64 v[46:47], v[46:47], v[42:43]
	v_add_f64 v[44:45], v[185:186], v[44:45]
	;; [unrolled: 1-line block ×3, first 2 shown]
	v_mul_f64 v[178:179], v[178:179], s[10:11]
	v_add_f64 v[40:41], v[197:198], v[187:188]
	v_add_f64 v[185:186], v[2:3], v[203:204]
	v_fma_f64 v[187:188], v[86:87], s[46:47], v[199:200]
	v_mul_f64 v[195:196], v[176:177], s[38:39]
	v_mul_f64 v[176:177], v[176:177], s[12:13]
	v_fma_f64 v[193:194], v[172:173], s[38:39], v[189:190]
	v_fma_f64 v[189:190], v[172:173], s[30:31], v[189:190]
	;; [unrolled: 1-line block ×3, first 2 shown]
	v_fma_f64 v[191:192], v[174:175], s[34:35], -v[191:192]
	v_fma_f64 v[172:173], v[172:173], s[12:13], v[178:179]
	v_add_f64 v[178:179], v[187:188], v[185:186]
	v_fma_f64 v[187:188], v[174:175], s[28:29], -v[195:196]
	v_fma_f64 v[195:196], v[174:175], s[28:29], v[195:196]
	v_fma_f64 v[199:200], v[174:175], s[10:11], v[176:177]
	v_fma_f64 v[174:175], v[174:175], s[10:11], -v[176:177]
	v_fma_f64 v[185:186], v[74:75], s[8:9], v[217:218]
	v_add_f64 v[176:177], v[0:1], v[191:192]
	v_fma_f64 v[191:192], v[64:65], s[24:25], -v[213:214]
	v_add_f64 v[193:194], v[2:3], v[193:194]
	v_add_f64 v[187:188], v[0:1], v[187:188]
	;; [unrolled: 1-line block ×11, first 2 shown]
	v_fma_f64 v[185:186], v[50:51], s[42:43], v[205:206]
	v_mul_f64 v[203:204], v[148:149], s[50:51]
	v_add_f64 v[176:177], v[191:192], v[176:177]
	v_fma_f64 v[191:192], v[80:81], s[6:7], -v[221:222]
	v_mul_f64 v[170:171], v[126:127], s[54:55]
	v_add_f64 v[2:3], v[2:3], v[160:161]
	v_add_f64 v[0:1], v[0:1], v[154:155]
	v_mul_f64 v[211:212], v[134:135], s[40:41]
	v_add_f64 v[178:179], v[185:186], v[178:179]
	v_fma_f64 v[185:186], v[48:49], s[30:31], v[207:208]
	v_fma_f64 v[205:206], v[86:87], s[54:55], v[203:204]
	v_mul_f64 v[207:208], v[144:145], s[24:25]
	v_add_f64 v[176:177], v[191:192], v[176:177]
	v_fma_f64 v[191:192], v[88:89], s[40:41], -v[219:220]
	v_add_f64 v[2:3], v[2:3], v[152:153]
	v_add_f64 v[0:1], v[0:1], v[150:151]
	v_fma_f64 v[160:161], v[64:65], s[50:51], -v[170:171]
	v_add_f64 v[178:179], v[185:186], v[178:179]
	v_fma_f64 v[185:186], v[92:93], s[12:13], v[201:202]
	v_add_f64 v[193:194], v[205:206], v[193:194]
	v_fma_f64 v[201:202], v[74:75], s[46:47], v[207:208]
	v_mul_f64 v[205:206], v[124:125], s[6:7]
	v_add_f64 v[168:169], v[191:192], v[176:177]
	v_fma_f64 v[176:177], v[96:97], s[28:29], -v[223:224]
	v_add_f64 v[2:3], v[2:3], v[146:147]
	v_add_f64 v[0:1], v[0:1], v[140:141]
	;; [unrolled: 1-line block ×5, first 2 shown]
	v_fma_f64 v[191:192], v[50:51], s[20:21], v[205:206]
	v_mul_f64 v[193:194], v[118:119], s[14:15]
	v_add_f64 v[168:169], v[176:177], v[168:169]
	v_mul_f64 v[176:177], v[120:121], s[46:47]
	v_add_f64 v[2:3], v[2:3], v[128:129]
	v_add_f64 v[0:1], v[0:1], v[116:117]
	v_mul_f64 v[160:161], v[130:131], s[20:21]
	v_fma_f64 v[146:147], v[92:93], s[42:43], v[211:212]
	v_add_f64 v[185:186], v[191:192], v[185:186]
	v_fma_f64 v[191:192], v[48:49], s[18:19], v[193:194]
	v_mul_f64 v[140:141], v[148:149], s[28:29]
	v_fma_f64 v[154:155], v[80:81], s[24:25], -v[176:177]
	v_add_f64 v[2:3], v[2:3], v[158:159]
	v_add_f64 v[0:1], v[0:1], v[156:157]
	v_mul_f64 v[144:145], v[144:145], s[34:35]
	v_mul_f64 v[124:125], v[124:125], s[50:51]
	v_mul_f64 v[118:119], v[118:119], s[40:41]
	v_add_f64 v[185:186], v[191:192], v[185:186]
	v_mul_f64 v[191:192], v[138:139], s[34:35]
	v_add_f64 v[150:151], v[154:155], v[152:153]
	v_fma_f64 v[152:153], v[88:89], s[6:7], -v[160:161]
	v_add_f64 v[2:3], v[2:3], v[106:107]
	v_add_f64 v[0:1], v[0:1], v[102:103]
	v_fma_f64 v[158:159], v[86:87], s[38:39], v[140:141]
	v_mul_f64 v[106:107], v[126:127], s[38:39]
	v_add_f64 v[128:129], v[146:147], v[185:186]
	v_mul_f64 v[102:103], v[120:121], s[36:37]
	v_mul_f64 v[130:131], v[130:131], s[54:55]
	v_add_f64 v[146:147], v[152:153], v[150:151]
	v_fma_f64 v[152:153], v[66:67], s[44:45], v[191:192]
	v_add_f64 v[2:3], v[2:3], v[100:101]
	v_add_f64 v[0:1], v[0:1], v[166:167]
	;; [unrolled: 1-line block ×3, first 2 shown]
	v_fma_f64 v[100:101], v[64:65], s[28:29], -v[106:107]
	v_fma_f64 v[156:157], v[80:81], s[34:35], -v[102:103]
	v_mul_f64 v[134:135], v[134:135], s[24:25]
	v_mul_f64 v[154:155], v[142:143], s[18:19]
	v_add_f64 v[128:129], v[152:153], v[128:129]
	v_fma_f64 v[152:153], v[74:75], s[36:37], v[144:145]
	v_add_f64 v[2:3], v[2:3], v[162:163]
	v_add_f64 v[0:1], v[0:1], v[164:165]
	;; [unrolled: 1-line block ×3, first 2 shown]
	v_mul_f64 v[142:143], v[142:143], s[48:49]
	v_mul_f64 v[150:151], v[122:123], s[42:43]
	;; [unrolled: 1-line block ×3, first 2 shown]
	v_fma_f64 v[148:149], v[96:97], s[14:15], -v[154:155]
	v_add_f64 v[120:121], v[152:153], v[126:127]
	v_fma_f64 v[126:127], v[50:51], s[54:55], v[124:125]
	v_add_f64 v[2:3], v[2:3], v[114:115]
	v_add_f64 v[0:1], v[0:1], v[112:113]
	;; [unrolled: 1-line block ×3, first 2 shown]
	v_fma_f64 v[114:115], v[88:89], s[50:51], -v[130:131]
	v_mul_f64 v[112:113], v[138:139], s[14:15]
	v_add_f64 v[146:147], v[148:149], v[146:147]
	v_fma_f64 v[148:149], v[94:95], s[40:41], -v[150:151]
	v_add_f64 v[120:121], v[126:127], v[120:121]
	v_fma_f64 v[126:127], v[48:49], s[48:49], v[118:119]
	v_add_f64 v[2:3], v[2:3], v[108:109]
	v_fma_f64 v[108:109], v[86:87], s[52:53], v[203:204]
	v_add_f64 v[0:1], v[0:1], v[104:105]
	v_add_f64 v[100:101], v[114:115], v[100:101]
	v_fma_f64 v[114:115], v[96:97], s[40:41], -v[142:143]
	v_fma_f64 v[104:105], v[66:67], s[22:23], v[112:113]
	v_fma_f64 v[201:202], v[66:67], s[54:55], v[209:210]
	v_add_f64 v[120:121], v[126:127], v[120:121]
	v_fma_f64 v[126:127], v[92:93], s[46:47], v[134:135]
	v_add_f64 v[2:3], v[2:3], v[84:85]
	v_add_f64 v[84:85], v[108:109], v[189:190]
	v_fma_f64 v[108:109], v[74:75], s[26:27], v[207:208]
	v_add_f64 v[0:1], v[0:1], v[70:71]
	v_add_f64 v[100:101], v[114:115], v[100:101]
	v_fma_f64 v[114:115], v[94:95], s[24:25], -v[122:123]
	v_fma_f64 v[74:75], v[74:75], s[44:45], v[144:145]
	v_add_f64 v[120:121], v[126:127], v[120:121]
	v_add_f64 v[2:3], v[2:3], v[90:91]
	v_fma_f64 v[90:91], v[50:51], s[8:9], v[205:206]
	v_add_f64 v[84:85], v[108:109], v[84:85]
	v_add_f64 v[0:1], v[0:1], v[82:83]
	v_fma_f64 v[82:83], v[86:87], s[30:31], v[140:141]
	v_mul_f64 v[126:127], v[132:133], s[22:23]
	v_add_f64 v[100:101], v[114:115], v[100:101]
	v_add_f64 v[70:71], v[104:105], v[120:121]
	v_fma_f64 v[104:105], v[64:65], s[50:51], v[170:171]
	v_add_f64 v[2:3], v[2:3], v[58:59]
	v_add_f64 v[58:59], v[90:91], v[84:85]
	v_fma_f64 v[84:85], v[48:49], s[22:23], v[193:194]
	v_add_f64 v[82:83], v[82:83], v[197:198]
	v_fma_f64 v[64:65], v[64:65], s[28:29], v[106:107]
	v_fma_f64 v[108:109], v[98:99], s[14:15], -v[126:127]
	v_add_f64 v[0:1], v[0:1], v[56:57]
	v_add_f64 v[86:87], v[104:105], v[195:196]
	v_fma_f64 v[104:105], v[80:81], s[24:25], v[176:177]
	v_fma_f64 v[50:51], v[50:51], s[52:53], v[124:125]
	v_add_f64 v[56:57], v[84:85], v[58:59]
	v_fma_f64 v[58:59], v[92:93], s[48:49], v[211:212]
	v_add_f64 v[74:75], v[74:75], v[82:83]
	;; [unrolled: 2-line block ×3, first 2 shown]
	v_add_f64 v[90:91], v[108:109], v[100:101]
	v_add_f64 v[86:87], v[104:105], v[86:87]
	v_fma_f64 v[100:101], v[88:89], s[6:7], v[160:161]
	v_add_f64 v[62:63], v[2:3], v[62:63]
	v_add_f64 v[58:59], v[58:59], v[56:57]
	v_fma_f64 v[2:3], v[48:49], s[42:43], v[118:119]
	v_add_f64 v[48:49], v[50:51], v[74:75]
	v_mul_f64 v[74:75], v[72:73], s[10:11]
	v_fma_f64 v[50:51], v[88:89], s[50:51], v[130:131]
	v_add_f64 v[56:57], v[80:81], v[64:65]
	v_mul_f64 v[72:73], v[72:73], s[6:7]
	v_add_f64 v[82:83], v[100:101], v[86:87]
	v_fma_f64 v[84:85], v[96:97], s[14:15], v[154:155]
	v_fma_f64 v[86:87], v[96:97], s[40:41], v[142:143]
	v_add_f64 v[146:147], v[148:149], v[146:147]
	v_mul_f64 v[148:149], v[132:133], s[44:45]
	v_fma_f64 v[209:210], v[94:95], s[10:11], -v[215:216]
	v_add_f64 v[100:101], v[50:51], v[56:57]
	v_fma_f64 v[96:97], v[68:69], s[20:21], v[72:73]
	v_fma_f64 v[80:81], v[92:93], s[26:27], v[134:135]
	v_add_f64 v[64:65], v[84:85], v[82:83]
	v_add_f64 v[48:49], v[2:3], v[48:49]
	v_fma_f64 v[88:89], v[94:95], s[40:41], v[150:151]
	v_fma_f64 v[84:85], v[68:69], s[16:17], v[74:75]
	v_mul_f64 v[102:103], v[136:137], s[20:21]
	v_add_f64 v[86:87], v[86:87], v[100:101]
	v_add_f64 v[56:57], v[96:97], v[70:71]
	v_fma_f64 v[70:71], v[94:95], s[24:25], v[122:123]
	v_add_f64 v[178:179], v[201:202], v[178:179]
	v_fma_f64 v[152:153], v[98:99], s[34:35], -v[148:149]
	v_fma_f64 v[82:83], v[68:69], s[22:23], v[182:183]
	v_mul_f64 v[92:93], v[136:137], s[16:17]
	v_add_f64 v[168:169], v[209:210], v[168:169]
	v_fma_f64 v[187:188], v[98:99], s[50:51], -v[225:226]
	v_add_f64 v[64:65], v[88:89], v[64:65]
	v_fma_f64 v[88:89], v[66:67], s[36:37], v[191:192]
	v_fma_f64 v[94:95], v[98:99], s[34:35], v[148:149]
	v_add_f64 v[0:1], v[0:1], v[60:61]
	v_fma_f64 v[66:67], v[66:67], s[18:19], v[112:113]
	v_add_f64 v[48:49], v[80:81], v[48:49]
	v_add_f64 v[60:61], v[62:63], v[54:55]
	v_fma_f64 v[54:55], v[98:99], s[14:15], v[126:127]
	v_add_f64 v[62:63], v[70:71], v[86:87]
	v_add_f64 v[50:51], v[84:85], v[128:129]
	v_fma_f64 v[84:85], v[110:111], s[6:7], -v[102:103]
	v_add_f64 v[146:147], v[152:153], v[146:147]
	v_add_f64 v[2:3], v[82:83], v[178:179]
	v_fma_f64 v[82:83], v[110:111], s[10:11], -v[92:93]
	v_add_f64 v[116:117], v[187:188], v[168:169]
	v_fma_f64 v[104:105], v[110:111], s[14:15], -v[180:181]
	v_add_f64 v[70:71], v[88:89], v[58:59]
	v_add_f64 v[80:81], v[94:95], v[64:65]
	v_fma_f64 v[64:65], v[68:69], s[12:13], v[74:75]
	v_fma_f64 v[68:69], v[68:69], s[8:9], v[72:73]
	v_add_f64 v[66:67], v[66:67], v[48:49]
	v_fma_f64 v[72:73], v[110:111], s[10:11], v[92:93]
	v_fma_f64 v[74:75], v[110:111], s[6:7], v[102:103]
	v_add_f64 v[86:87], v[54:55], v[62:63]
	v_add_f64 v[58:59], v[0:1], v[52:53]
	;; [unrolled: 1-line block ×9, first 2 shown]
	ds_write_b128 v184, v[58:61]
	ds_write_b128 v184, v[54:57] offset:800
	ds_write_b128 v184, v[48:51] offset:1600
	;; [unrolled: 1-line block ×16, first 2 shown]
.LBB0_21:
	s_or_b64 exec, exec, s[4:5]
	s_waitcnt lgkmcnt(0)
	s_barrier
	s_and_saveexec_b64 s[4:5], s[0:1]
	s_cbranch_execz .LBB0_23
; %bb.22:
	v_lshl_add_u32 v10, v76, 4, 0
	v_mov_b32_e32 v77, 0
	ds_read_b128 v[0:3], v10
	v_mov_b32_e32 v4, s3
	v_add_co_u32_e32 v11, vcc, s2, v78
	v_addc_co_u32_e32 v12, vcc, v4, v79, vcc
	v_lshlrev_b64 v[4:5], 4, v[76:77]
	v_add_co_u32_e32 v8, vcc, v11, v4
	v_addc_co_u32_e32 v9, vcc, v12, v5, vcc
	ds_read_b128 v[4:7], v10 offset:1360
	s_waitcnt lgkmcnt(1)
	global_store_dwordx4 v[8:9], v[0:3], off
	s_nop 0
	v_add_u32_e32 v0, 0x55, v76
	v_mov_b32_e32 v1, v77
	v_lshlrev_b64 v[0:1], 4, v[0:1]
	v_add_co_u32_e32 v0, vcc, v11, v0
	v_addc_co_u32_e32 v1, vcc, v12, v1, vcc
	s_waitcnt lgkmcnt(0)
	global_store_dwordx4 v[0:1], v[4:7], off
	ds_read_b128 v[0:3], v10 offset:2720
	v_add_u32_e32 v4, 0xaa, v76
	v_mov_b32_e32 v5, v77
	v_lshlrev_b64 v[4:5], 4, v[4:5]
	v_add_co_u32_e32 v8, vcc, v11, v4
	v_addc_co_u32_e32 v9, vcc, v12, v5, vcc
	ds_read_b128 v[4:7], v10 offset:4080
	s_waitcnt lgkmcnt(1)
	global_store_dwordx4 v[8:9], v[0:3], off
	s_nop 0
	v_add_u32_e32 v0, 0xff, v76
	v_mov_b32_e32 v1, v77
	v_lshlrev_b64 v[0:1], 4, v[0:1]
	v_add_co_u32_e32 v0, vcc, v11, v0
	v_addc_co_u32_e32 v1, vcc, v12, v1, vcc
	s_waitcnt lgkmcnt(0)
	global_store_dwordx4 v[0:1], v[4:7], off
	ds_read_b128 v[0:3], v10 offset:5440
	v_add_u32_e32 v4, 0x154, v76
	v_mov_b32_e32 v5, v77
	;; [unrolled: 17-line block ×4, first 2 shown]
	v_lshlrev_b64 v[4:5], 4, v[4:5]
	v_add_u32_e32 v76, 0x2fd, v76
	v_add_co_u32_e32 v8, vcc, v11, v4
	v_addc_co_u32_e32 v9, vcc, v12, v5, vcc
	ds_read_b128 v[4:7], v10 offset:12240
	s_waitcnt lgkmcnt(1)
	global_store_dwordx4 v[8:9], v[0:3], off
	s_nop 0
	v_lshlrev_b64 v[0:1], 4, v[76:77]
	v_add_co_u32_e32 v0, vcc, v11, v0
	v_addc_co_u32_e32 v1, vcc, v12, v1, vcc
	s_waitcnt lgkmcnt(0)
	global_store_dwordx4 v[0:1], v[4:7], off
.LBB0_23:
	s_endpgm
	.section	.rodata,"a",@progbits
	.p2align	6, 0x0
	.amdhsa_kernel fft_rtc_fwd_len850_factors_10_5_17_wgs_85_tpt_85_dp_ip_CI_unitstride_sbrr_C2R_dirReg
		.amdhsa_group_segment_fixed_size 0
		.amdhsa_private_segment_fixed_size 0
		.amdhsa_kernarg_size 88
		.amdhsa_user_sgpr_count 6
		.amdhsa_user_sgpr_private_segment_buffer 1
		.amdhsa_user_sgpr_dispatch_ptr 0
		.amdhsa_user_sgpr_queue_ptr 0
		.amdhsa_user_sgpr_kernarg_segment_ptr 1
		.amdhsa_user_sgpr_dispatch_id 0
		.amdhsa_user_sgpr_flat_scratch_init 0
		.amdhsa_user_sgpr_private_segment_size 0
		.amdhsa_uses_dynamic_stack 0
		.amdhsa_system_sgpr_private_segment_wavefront_offset 0
		.amdhsa_system_sgpr_workgroup_id_x 1
		.amdhsa_system_sgpr_workgroup_id_y 0
		.amdhsa_system_sgpr_workgroup_id_z 0
		.amdhsa_system_sgpr_workgroup_info 0
		.amdhsa_system_vgpr_workitem_id 0
		.amdhsa_next_free_vgpr 227
		.amdhsa_next_free_sgpr 56
		.amdhsa_reserve_vcc 1
		.amdhsa_reserve_flat_scratch 0
		.amdhsa_float_round_mode_32 0
		.amdhsa_float_round_mode_16_64 0
		.amdhsa_float_denorm_mode_32 3
		.amdhsa_float_denorm_mode_16_64 3
		.amdhsa_dx10_clamp 1
		.amdhsa_ieee_mode 1
		.amdhsa_fp16_overflow 0
		.amdhsa_exception_fp_ieee_invalid_op 0
		.amdhsa_exception_fp_denorm_src 0
		.amdhsa_exception_fp_ieee_div_zero 0
		.amdhsa_exception_fp_ieee_overflow 0
		.amdhsa_exception_fp_ieee_underflow 0
		.amdhsa_exception_fp_ieee_inexact 0
		.amdhsa_exception_int_div_zero 0
	.end_amdhsa_kernel
	.text
.Lfunc_end0:
	.size	fft_rtc_fwd_len850_factors_10_5_17_wgs_85_tpt_85_dp_ip_CI_unitstride_sbrr_C2R_dirReg, .Lfunc_end0-fft_rtc_fwd_len850_factors_10_5_17_wgs_85_tpt_85_dp_ip_CI_unitstride_sbrr_C2R_dirReg
                                        ; -- End function
	.section	.AMDGPU.csdata,"",@progbits
; Kernel info:
; codeLenInByte = 12928
; NumSgprs: 60
; NumVgprs: 227
; ScratchSize: 0
; MemoryBound: 0
; FloatMode: 240
; IeeeMode: 1
; LDSByteSize: 0 bytes/workgroup (compile time only)
; SGPRBlocks: 7
; VGPRBlocks: 56
; NumSGPRsForWavesPerEU: 60
; NumVGPRsForWavesPerEU: 227
; Occupancy: 1
; WaveLimiterHint : 1
; COMPUTE_PGM_RSRC2:SCRATCH_EN: 0
; COMPUTE_PGM_RSRC2:USER_SGPR: 6
; COMPUTE_PGM_RSRC2:TRAP_HANDLER: 0
; COMPUTE_PGM_RSRC2:TGID_X_EN: 1
; COMPUTE_PGM_RSRC2:TGID_Y_EN: 0
; COMPUTE_PGM_RSRC2:TGID_Z_EN: 0
; COMPUTE_PGM_RSRC2:TIDIG_COMP_CNT: 0
	.type	__hip_cuid_c07716e54daeec21,@object ; @__hip_cuid_c07716e54daeec21
	.section	.bss,"aw",@nobits
	.globl	__hip_cuid_c07716e54daeec21
__hip_cuid_c07716e54daeec21:
	.byte	0                               ; 0x0
	.size	__hip_cuid_c07716e54daeec21, 1

	.ident	"AMD clang version 19.0.0git (https://github.com/RadeonOpenCompute/llvm-project roc-6.4.0 25133 c7fe45cf4b819c5991fe208aaa96edf142730f1d)"
	.section	".note.GNU-stack","",@progbits
	.addrsig
	.addrsig_sym __hip_cuid_c07716e54daeec21
	.amdgpu_metadata
---
amdhsa.kernels:
  - .args:
      - .actual_access:  read_only
        .address_space:  global
        .offset:         0
        .size:           8
        .value_kind:     global_buffer
      - .offset:         8
        .size:           8
        .value_kind:     by_value
      - .actual_access:  read_only
        .address_space:  global
        .offset:         16
        .size:           8
        .value_kind:     global_buffer
      - .actual_access:  read_only
        .address_space:  global
        .offset:         24
        .size:           8
        .value_kind:     global_buffer
      - .offset:         32
        .size:           8
        .value_kind:     by_value
      - .actual_access:  read_only
        .address_space:  global
        .offset:         40
        .size:           8
        .value_kind:     global_buffer
      - .actual_access:  read_only
        .address_space:  global
        .offset:         48
        .size:           8
        .value_kind:     global_buffer
      - .offset:         56
        .size:           4
        .value_kind:     by_value
      - .actual_access:  read_only
        .address_space:  global
        .offset:         64
        .size:           8
        .value_kind:     global_buffer
      - .actual_access:  read_only
        .address_space:  global
        .offset:         72
        .size:           8
        .value_kind:     global_buffer
      - .address_space:  global
        .offset:         80
        .size:           8
        .value_kind:     global_buffer
    .group_segment_fixed_size: 0
    .kernarg_segment_align: 8
    .kernarg_segment_size: 88
    .language:       OpenCL C
    .language_version:
      - 2
      - 0
    .max_flat_workgroup_size: 85
    .name:           fft_rtc_fwd_len850_factors_10_5_17_wgs_85_tpt_85_dp_ip_CI_unitstride_sbrr_C2R_dirReg
    .private_segment_fixed_size: 0
    .sgpr_count:     60
    .sgpr_spill_count: 0
    .symbol:         fft_rtc_fwd_len850_factors_10_5_17_wgs_85_tpt_85_dp_ip_CI_unitstride_sbrr_C2R_dirReg.kd
    .uniform_work_group_size: 1
    .uses_dynamic_stack: false
    .vgpr_count:     227
    .vgpr_spill_count: 0
    .wavefront_size: 64
amdhsa.target:   amdgcn-amd-amdhsa--gfx906
amdhsa.version:
  - 1
  - 2
...

	.end_amdgpu_metadata
